;; amdgpu-corpus repo=ROCm/rocThrust kind=compiled arch=gfx1250 opt=O3
	.amdgcn_target "amdgcn-amd-amdhsa--gfx1250"
	.amdhsa_code_object_version 6
	.section	.text._ZN6thrust23THRUST_200600_302600_NS11hip_rocprim14__parallel_for6kernelILj256ENS1_11__transform17unary_transform_fINS0_12zip_iteratorINS0_5tupleINS0_6detail15normal_iteratorINS0_10device_ptrIiEEEESC_SC_SC_SC_SC_SC_SC_SC_NS0_17counting_iteratorIiNS0_11use_defaultESE_SE_EEEEEESC_NS4_14no_stencil_tagE10minFunctorNS4_21always_true_predicateEEElLj1EEEvT0_T1_SN_,"axG",@progbits,_ZN6thrust23THRUST_200600_302600_NS11hip_rocprim14__parallel_for6kernelILj256ENS1_11__transform17unary_transform_fINS0_12zip_iteratorINS0_5tupleINS0_6detail15normal_iteratorINS0_10device_ptrIiEEEESC_SC_SC_SC_SC_SC_SC_SC_NS0_17counting_iteratorIiNS0_11use_defaultESE_SE_EEEEEESC_NS4_14no_stencil_tagE10minFunctorNS4_21always_true_predicateEEElLj1EEEvT0_T1_SN_,comdat
	.protected	_ZN6thrust23THRUST_200600_302600_NS11hip_rocprim14__parallel_for6kernelILj256ENS1_11__transform17unary_transform_fINS0_12zip_iteratorINS0_5tupleINS0_6detail15normal_iteratorINS0_10device_ptrIiEEEESC_SC_SC_SC_SC_SC_SC_SC_NS0_17counting_iteratorIiNS0_11use_defaultESE_SE_EEEEEESC_NS4_14no_stencil_tagE10minFunctorNS4_21always_true_predicateEEElLj1EEEvT0_T1_SN_ ; -- Begin function _ZN6thrust23THRUST_200600_302600_NS11hip_rocprim14__parallel_for6kernelILj256ENS1_11__transform17unary_transform_fINS0_12zip_iteratorINS0_5tupleINS0_6detail15normal_iteratorINS0_10device_ptrIiEEEESC_SC_SC_SC_SC_SC_SC_SC_NS0_17counting_iteratorIiNS0_11use_defaultESE_SE_EEEEEESC_NS4_14no_stencil_tagE10minFunctorNS4_21always_true_predicateEEElLj1EEEvT0_T1_SN_
	.globl	_ZN6thrust23THRUST_200600_302600_NS11hip_rocprim14__parallel_for6kernelILj256ENS1_11__transform17unary_transform_fINS0_12zip_iteratorINS0_5tupleINS0_6detail15normal_iteratorINS0_10device_ptrIiEEEESC_SC_SC_SC_SC_SC_SC_SC_NS0_17counting_iteratorIiNS0_11use_defaultESE_SE_EEEEEESC_NS4_14no_stencil_tagE10minFunctorNS4_21always_true_predicateEEElLj1EEEvT0_T1_SN_
	.p2align	8
	.type	_ZN6thrust23THRUST_200600_302600_NS11hip_rocprim14__parallel_for6kernelILj256ENS1_11__transform17unary_transform_fINS0_12zip_iteratorINS0_5tupleINS0_6detail15normal_iteratorINS0_10device_ptrIiEEEESC_SC_SC_SC_SC_SC_SC_SC_NS0_17counting_iteratorIiNS0_11use_defaultESE_SE_EEEEEESC_NS4_14no_stencil_tagE10minFunctorNS4_21always_true_predicateEEElLj1EEEvT0_T1_SN_,@function
_ZN6thrust23THRUST_200600_302600_NS11hip_rocprim14__parallel_for6kernelILj256ENS1_11__transform17unary_transform_fINS0_12zip_iteratorINS0_5tupleINS0_6detail15normal_iteratorINS0_10device_ptrIiEEEESC_SC_SC_SC_SC_SC_SC_SC_NS0_17counting_iteratorIiNS0_11use_defaultESE_SE_EEEEEESC_NS4_14no_stencil_tagE10minFunctorNS4_21always_true_predicateEEElLj1EEEvT0_T1_SN_: ; @_ZN6thrust23THRUST_200600_302600_NS11hip_rocprim14__parallel_for6kernelILj256ENS1_11__transform17unary_transform_fINS0_12zip_iteratorINS0_5tupleINS0_6detail15normal_iteratorINS0_10device_ptrIiEEEESC_SC_SC_SC_SC_SC_SC_SC_NS0_17counting_iteratorIiNS0_11use_defaultESE_SE_EEEEEESC_NS4_14no_stencil_tagE10minFunctorNS4_21always_true_predicateEEElLj1EEEvT0_T1_SN_
; %bb.0:
	s_clause 0x1
	s_load_b128 s[4:7], s[0:1], 0x68
	s_load_b96 s[20:22], s[0:1], 0x58
	s_bfe_u32 s2, ttmp6, 0x4000c
	s_and_b32 s3, ttmp6, 15
	s_add_co_i32 s2, s2, 1
	s_getreg_b32 s8, hwreg(HW_REG_IB_STS2, 6, 4)
	s_mul_i32 s2, ttmp9, s2
	s_delay_alu instid0(SALU_CYCLE_1)
	s_add_co_i32 s3, s3, s2
	s_cmp_eq_u32 s8, 0
	s_cselect_b32 s2, ttmp9, s3
	s_mov_b32 s3, 0
	s_lshl_b32 s2, s2, 8
	s_wait_kmcnt 0x0
	s_add_nc_u64 s[2:3], s[6:7], s[2:3]
	s_delay_alu instid0(SALU_CYCLE_1) | instskip(NEXT) | instid1(SALU_CYCLE_1)
	s_sub_nc_u64 s[4:5], s[4:5], s[2:3]
	v_min_i64 v[2:3], 0x100, s[4:5]
	s_clause 0x2
	s_load_b512 s[4:19], s[0:1], 0x0
	s_load_b96 s[24:26], s[0:1], 0x40
	s_load_b64 s[28:29], s[0:1], 0x50
	s_wait_xcnt 0x0
	s_mov_b32 s0, -1
	s_delay_alu instid0(VALU_DEP_1)
	v_cmp_eq_u32_e32 vcc_lo, 0x100, v2
	s_cbranch_vccz .LBB0_3
; %bb.1:
	s_and_not1_b32 vcc_lo, exec_lo, s0
	s_cbranch_vccz .LBB0_38
.LBB0_2:
	s_endpgm
.LBB0_3:
	s_mov_b32 s1, exec_lo
	v_cmpx_lt_u32_e64 v0, v2
	s_cbranch_execz .LBB0_37
; %bb.4:
	v_mov_b32_e32 v1, 0
	s_abs_i32 s23, s20
	s_mov_b32 s31, 0
	s_cvt_f32_u32 s0, s23
	s_sub_co_i32 s27, 0, s23
	v_add_nc_u64_e32 v[2:3], s[2:3], v[0:1]
	s_mul_i32 s33, s21, s20
	s_mov_b32 s34, exec_lo
	s_wait_kmcnt 0x0
	s_delay_alu instid0(VALU_DEP_1) | instskip(SKIP_4) | instid1(TRANS32_DEP_1)
	v_lshl_add_u64 v[4:5], v[2:3], 2, s[4:5]
	global_load_b32 v1, v[4:5], off
	s_wait_xcnt 0x0
	v_rcp_iflag_f32_e32 v4, s0
	v_nop
	v_readfirstlane_b32 s0, v4
	v_add_nc_u32_e32 v4, s26, v2
	s_mul_f32 s0, s0, 0x4f7ffffe
	s_delay_alu instid0(VALU_DEP_1) | instskip(NEXT) | instid1(SALU_CYCLE_2)
	v_sub_nc_u32_e32 v5, 0, v4
	s_cvt_u32_f32 s0, s0
	s_delay_alu instid0(VALU_DEP_1) | instskip(NEXT) | instid1(SALU_CYCLE_2)
	v_max_i32_e32 v5, v4, v5
	s_mul_i32 s27, s27, s0
	s_delay_alu instid0(SALU_CYCLE_1) | instskip(NEXT) | instid1(SALU_CYCLE_1)
	s_mul_hi_u32 s27, s0, s27
	s_add_co_i32 s30, s0, s27
	s_ashr_i32 s27, s20, 31
	v_mul_hi_u32 v6, v5, s30
	s_delay_alu instid0(VALU_DEP_1) | instskip(NEXT) | instid1(VALU_DEP_1)
	v_mul_lo_u32 v7, v6, s23
	v_dual_sub_nc_u32 v5, v5, v7 :: v_dual_add_nc_u32 v7, 1, v6
	s_delay_alu instid0(VALU_DEP_1) | instskip(NEXT) | instid1(VALU_DEP_2)
	v_cmp_le_u32_e32 vcc_lo, s23, v5
	v_dual_cndmask_b32 v6, v6, v7 :: v_dual_ashrrev_i32 v7, 31, v4
	v_subrev_nc_u32_e32 v8, s23, v5
	s_delay_alu instid0(VALU_DEP_1) | instskip(NEXT) | instid1(VALU_DEP_1)
	v_dual_cndmask_b32 v5, v5, v8 :: v_dual_add_nc_u32 v8, 1, v6
	v_cmp_le_u32_e32 vcc_lo, s23, v5
	s_delay_alu instid0(VALU_DEP_2) | instskip(NEXT) | instid1(VALU_DEP_1)
	v_dual_cndmask_b32 v5, v6, v8, vcc_lo :: v_dual_bitop2_b32 v7, s27, v7 bitop3:0x14
	v_xor_b32_e32 v5, v5, v7
	s_delay_alu instid0(VALU_DEP_1) | instskip(NEXT) | instid1(VALU_DEP_1)
	v_sub_nc_u32_e32 v5, v5, v7
	v_mul_lo_u32 v6, v5, s20
	s_delay_alu instid0(VALU_DEP_1) | instskip(NEXT) | instid1(VALU_DEP_1)
	v_sub_nc_u32_e32 v4, v4, v6
	v_cmpx_le_i32_e64 s22, v4
	s_cbranch_execz .LBB0_16
; %bb.5:
	v_lshl_add_u64 v[6:7], v[2:3], 2, s[10:11]
	s_mov_b32 s35, exec_lo
	global_load_b32 v6, v[6:7], off
	s_wait_loadcnt 0x0
	v_cmpx_ne_u32_e64 s33, v6
	s_cbranch_execz .LBB0_7
; %bb.6:
	v_dual_sub_nc_u32 v7, 0, v6 :: v_dual_mov_b32 v9, 0
	s_delay_alu instid0(VALU_DEP_1) | instskip(NEXT) | instid1(VALU_DEP_1)
	v_max_i32_e32 v8, v6, v7
	v_mul_u64_e32 v[10:11], s[30:31], v[8:9]
	v_sub_nc_u32_e32 v10, 0, v1
	s_delay_alu instid0(VALU_DEP_2) | instskip(NEXT) | instid1(VALU_DEP_1)
	v_mul_lo_u32 v7, v11, s23
	v_dual_sub_nc_u32 v7, v8, v7 :: v_dual_max_i32 v8, v1, v10
	v_ashrrev_i32_e32 v10, 31, v6
	s_delay_alu instid0(VALU_DEP_2) | instskip(NEXT) | instid1(VALU_DEP_3)
	v_cmp_le_u32_e32 vcc_lo, s23, v7
	v_mul_u64_e32 v[12:13], s[30:31], v[8:9]
	v_dual_add_nc_u32 v12, 1, v11 :: v_dual_ashrrev_i32 v14, 31, v1
	s_delay_alu instid0(VALU_DEP_1) | instskip(SKIP_1) | instid1(VALU_DEP_1)
	v_dual_cndmask_b32 v11, v11, v12, vcc_lo :: v_dual_bitop2_b32 v10, s27, v10 bitop3:0x14
	v_subrev_nc_u32_e32 v12, s23, v7
	v_dual_cndmask_b32 v7, v7, v12 :: v_dual_add_nc_u32 v12, 1, v11
	s_delay_alu instid0(VALU_DEP_1) | instskip(NEXT) | instid1(VALU_DEP_2)
	v_cmp_le_u32_e32 vcc_lo, s23, v7
	v_dual_cndmask_b32 v7, v11, v12, vcc_lo :: v_dual_bitop2_b32 v14, s27, v14 bitop3:0x14
	s_delay_alu instid0(VALU_DEP_1) | instskip(SKIP_1) | instid1(VALU_DEP_1)
	v_xor_b32_e32 v7, v7, v10
	v_mul_lo_u32 v9, v13, s23
	v_dual_sub_nc_u32 v7, v7, v10 :: v_dual_sub_nc_u32 v8, v8, v9
	v_add_nc_u32_e32 v9, 1, v13
	s_delay_alu instid0(VALU_DEP_2) | instskip(NEXT) | instid1(VALU_DEP_1)
	v_cmp_le_u32_e64 s0, s23, v8
	v_cndmask_b32_e64 v9, v13, v9, s0
	v_subrev_nc_u32_e32 v15, s23, v8
	s_delay_alu instid0(VALU_DEP_1) | instskip(NEXT) | instid1(VALU_DEP_1)
	v_dual_add_nc_u32 v13, 1, v9 :: v_dual_cndmask_b32 v8, v8, v15, s0
	v_cmp_le_u32_e32 vcc_lo, s23, v8
	s_delay_alu instid0(VALU_DEP_2) | instskip(SKIP_1) | instid1(VALU_DEP_2)
	v_cndmask_b32_e32 v8, v9, v13, vcc_lo
	v_mul_lo_u32 v9, v7, s20
	v_dual_sub_nc_u32 v7, v5, v7 :: v_dual_bitop2_b32 v8, v8, v14 bitop3:0x14
	s_delay_alu instid0(VALU_DEP_1) | instskip(NEXT) | instid1(VALU_DEP_2)
	v_mul_lo_u32 v7, v7, v7
	v_sub_nc_u32_e32 v8, v8, v14
	s_delay_alu instid0(VALU_DEP_1) | instskip(NEXT) | instid1(VALU_DEP_1)
	v_mul_lo_u32 v10, v8, s20
	v_dual_sub_nc_u32 v10, v10, v1 :: v_dual_sub_nc_u32 v8, v5, v8
	s_delay_alu instid0(VALU_DEP_1) | instskip(NEXT) | instid1(VALU_DEP_2)
	v_dual_sub_nc_u32 v9, v9, v6 :: v_dual_add_nc_u32 v10, v10, v4
	v_mul_lo_u32 v8, v8, v8
	s_delay_alu instid0(VALU_DEP_2) | instskip(NEXT) | instid1(VALU_DEP_1)
	v_add_nc_u32_e32 v9, v9, v4
	v_mad_u32 v7, v9, v9, v7
	s_delay_alu instid0(VALU_DEP_3) | instskip(NEXT) | instid1(VALU_DEP_1)
	v_mad_u32 v8, v10, v10, v8
	v_cmp_lt_u32_e32 vcc_lo, v7, v8
	v_cndmask_b32_e32 v1, v1, v6, vcc_lo
.LBB0_7:
	s_or_b32 exec_lo, exec_lo, s35
	s_delay_alu instid0(SALU_CYCLE_1)
	s_mov_b32 s35, exec_lo
	v_cmpx_le_i32_e64 s22, v5
	s_cbranch_execz .LBB0_11
; %bb.8:
	v_lshl_add_u64 v[6:7], v[2:3], 2, s[24:25]
	s_mov_b32 s36, exec_lo
	global_load_b32 v6, v[6:7], off
	s_wait_loadcnt 0x0
	v_cmpx_ne_u32_e64 s33, v6
	s_cbranch_execz .LBB0_10
; %bb.9:
	v_dual_sub_nc_u32 v7, 0, v6 :: v_dual_mov_b32 v9, 0
	s_delay_alu instid0(VALU_DEP_1) | instskip(NEXT) | instid1(VALU_DEP_1)
	v_max_i32_e32 v8, v6, v7
	v_mul_u64_e32 v[10:11], s[30:31], v[8:9]
	v_sub_nc_u32_e32 v10, 0, v1
	s_delay_alu instid0(VALU_DEP_2) | instskip(NEXT) | instid1(VALU_DEP_1)
	v_mul_lo_u32 v7, v11, s23
	v_dual_sub_nc_u32 v7, v8, v7 :: v_dual_max_i32 v8, v1, v10
	v_ashrrev_i32_e32 v10, 31, v6
	s_delay_alu instid0(VALU_DEP_2) | instskip(NEXT) | instid1(VALU_DEP_3)
	v_cmp_le_u32_e32 vcc_lo, s23, v7
	v_mul_u64_e32 v[12:13], s[30:31], v[8:9]
	v_dual_add_nc_u32 v12, 1, v11 :: v_dual_ashrrev_i32 v14, 31, v1
	s_delay_alu instid0(VALU_DEP_1) | instskip(SKIP_1) | instid1(VALU_DEP_1)
	v_dual_cndmask_b32 v11, v11, v12, vcc_lo :: v_dual_bitop2_b32 v10, s27, v10 bitop3:0x14
	v_subrev_nc_u32_e32 v12, s23, v7
	v_dual_cndmask_b32 v7, v7, v12 :: v_dual_add_nc_u32 v12, 1, v11
	s_delay_alu instid0(VALU_DEP_1) | instskip(NEXT) | instid1(VALU_DEP_2)
	v_cmp_le_u32_e32 vcc_lo, s23, v7
	v_dual_cndmask_b32 v7, v11, v12, vcc_lo :: v_dual_bitop2_b32 v14, s27, v14 bitop3:0x14
	s_delay_alu instid0(VALU_DEP_1) | instskip(SKIP_1) | instid1(VALU_DEP_1)
	v_xor_b32_e32 v7, v7, v10
	v_mul_lo_u32 v9, v13, s23
	v_dual_sub_nc_u32 v7, v7, v10 :: v_dual_sub_nc_u32 v8, v8, v9
	v_add_nc_u32_e32 v9, 1, v13
	s_delay_alu instid0(VALU_DEP_2) | instskip(NEXT) | instid1(VALU_DEP_1)
	v_cmp_le_u32_e64 s0, s23, v8
	v_cndmask_b32_e64 v9, v13, v9, s0
	v_subrev_nc_u32_e32 v15, s23, v8
	s_delay_alu instid0(VALU_DEP_1) | instskip(NEXT) | instid1(VALU_DEP_1)
	v_dual_add_nc_u32 v13, 1, v9 :: v_dual_cndmask_b32 v8, v8, v15, s0
	v_cmp_le_u32_e32 vcc_lo, s23, v8
	s_delay_alu instid0(VALU_DEP_2) | instskip(SKIP_1) | instid1(VALU_DEP_2)
	v_cndmask_b32_e32 v8, v9, v13, vcc_lo
	v_mul_lo_u32 v9, v7, s20
	v_dual_sub_nc_u32 v7, v5, v7 :: v_dual_bitop2_b32 v8, v8, v14 bitop3:0x14
	s_delay_alu instid0(VALU_DEP_1) | instskip(NEXT) | instid1(VALU_DEP_2)
	v_mul_lo_u32 v7, v7, v7
	v_sub_nc_u32_e32 v8, v8, v14
	s_delay_alu instid0(VALU_DEP_1) | instskip(NEXT) | instid1(VALU_DEP_1)
	v_mul_lo_u32 v10, v8, s20
	v_dual_sub_nc_u32 v10, v10, v1 :: v_dual_sub_nc_u32 v8, v5, v8
	s_delay_alu instid0(VALU_DEP_1) | instskip(NEXT) | instid1(VALU_DEP_2)
	v_dual_sub_nc_u32 v9, v9, v6 :: v_dual_add_nc_u32 v10, v10, v4
	v_mul_lo_u32 v8, v8, v8
	s_delay_alu instid0(VALU_DEP_2) | instskip(NEXT) | instid1(VALU_DEP_1)
	v_add_nc_u32_e32 v9, v9, v4
	v_mad_u32 v7, v9, v9, v7
	s_delay_alu instid0(VALU_DEP_3) | instskip(NEXT) | instid1(VALU_DEP_1)
	v_mad_u32 v8, v10, v10, v8
	v_cmp_lt_u32_e32 vcc_lo, v7, v8
	v_cndmask_b32_e32 v1, v1, v6, vcc_lo
.LBB0_10:
	s_or_b32 exec_lo, exec_lo, s36
.LBB0_11:
	s_delay_alu instid0(SALU_CYCLE_1) | instskip(SKIP_2) | instid1(VALU_DEP_1)
	s_or_b32 exec_lo, exec_lo, s35
	v_add_nc_u32_e32 v6, s22, v5
	s_mov_b32 s35, exec_lo
	v_cmpx_gt_i32_e64 s21, v6
	s_cbranch_execz .LBB0_15
; %bb.12:
	v_lshl_add_u64 v[6:7], v[2:3], 2, s[18:19]
	s_mov_b32 s36, exec_lo
	global_load_b32 v6, v[6:7], off
	s_wait_loadcnt 0x0
	v_cmpx_ne_u32_e64 s33, v6
	s_cbranch_execz .LBB0_14
; %bb.13:
	v_dual_sub_nc_u32 v7, 0, v6 :: v_dual_mov_b32 v9, 0
	s_delay_alu instid0(VALU_DEP_1) | instskip(NEXT) | instid1(VALU_DEP_1)
	v_max_i32_e32 v8, v6, v7
	v_mul_u64_e32 v[10:11], s[30:31], v[8:9]
	v_sub_nc_u32_e32 v10, 0, v1
	s_delay_alu instid0(VALU_DEP_2) | instskip(NEXT) | instid1(VALU_DEP_1)
	v_mul_lo_u32 v7, v11, s23
	v_dual_sub_nc_u32 v7, v8, v7 :: v_dual_max_i32 v8, v1, v10
	v_ashrrev_i32_e32 v10, 31, v6
	s_delay_alu instid0(VALU_DEP_2) | instskip(NEXT) | instid1(VALU_DEP_3)
	v_cmp_le_u32_e32 vcc_lo, s23, v7
	v_mul_u64_e32 v[12:13], s[30:31], v[8:9]
	v_dual_add_nc_u32 v12, 1, v11 :: v_dual_ashrrev_i32 v14, 31, v1
	s_delay_alu instid0(VALU_DEP_1) | instskip(SKIP_1) | instid1(VALU_DEP_1)
	v_dual_cndmask_b32 v11, v11, v12, vcc_lo :: v_dual_bitop2_b32 v10, s27, v10 bitop3:0x14
	v_subrev_nc_u32_e32 v12, s23, v7
	v_dual_cndmask_b32 v7, v7, v12 :: v_dual_add_nc_u32 v12, 1, v11
	s_delay_alu instid0(VALU_DEP_1) | instskip(NEXT) | instid1(VALU_DEP_2)
	v_cmp_le_u32_e32 vcc_lo, s23, v7
	v_dual_cndmask_b32 v7, v11, v12, vcc_lo :: v_dual_bitop2_b32 v14, s27, v14 bitop3:0x14
	s_delay_alu instid0(VALU_DEP_1) | instskip(SKIP_1) | instid1(VALU_DEP_1)
	v_xor_b32_e32 v7, v7, v10
	v_mul_lo_u32 v9, v13, s23
	v_dual_sub_nc_u32 v7, v7, v10 :: v_dual_sub_nc_u32 v8, v8, v9
	v_add_nc_u32_e32 v9, 1, v13
	s_delay_alu instid0(VALU_DEP_2) | instskip(NEXT) | instid1(VALU_DEP_1)
	v_cmp_le_u32_e64 s0, s23, v8
	v_cndmask_b32_e64 v9, v13, v9, s0
	v_subrev_nc_u32_e32 v15, s23, v8
	s_delay_alu instid0(VALU_DEP_1) | instskip(NEXT) | instid1(VALU_DEP_1)
	v_dual_add_nc_u32 v13, 1, v9 :: v_dual_cndmask_b32 v8, v8, v15, s0
	v_cmp_le_u32_e32 vcc_lo, s23, v8
	s_delay_alu instid0(VALU_DEP_2) | instskip(SKIP_1) | instid1(VALU_DEP_2)
	v_cndmask_b32_e32 v8, v9, v13, vcc_lo
	v_mul_lo_u32 v9, v7, s20
	v_dual_sub_nc_u32 v7, v5, v7 :: v_dual_bitop2_b32 v8, v8, v14 bitop3:0x14
	s_delay_alu instid0(VALU_DEP_1) | instskip(NEXT) | instid1(VALU_DEP_2)
	v_mul_lo_u32 v7, v7, v7
	v_sub_nc_u32_e32 v8, v8, v14
	s_delay_alu instid0(VALU_DEP_1) | instskip(NEXT) | instid1(VALU_DEP_1)
	v_mul_lo_u32 v10, v8, s20
	v_dual_sub_nc_u32 v10, v10, v1 :: v_dual_sub_nc_u32 v8, v5, v8
	s_delay_alu instid0(VALU_DEP_1) | instskip(NEXT) | instid1(VALU_DEP_2)
	v_dual_sub_nc_u32 v9, v9, v6 :: v_dual_add_nc_u32 v10, v10, v4
	v_mul_lo_u32 v8, v8, v8
	s_delay_alu instid0(VALU_DEP_2) | instskip(NEXT) | instid1(VALU_DEP_1)
	v_add_nc_u32_e32 v9, v9, v4
	v_mad_u32 v7, v9, v9, v7
	s_delay_alu instid0(VALU_DEP_3) | instskip(NEXT) | instid1(VALU_DEP_1)
	v_mad_u32 v8, v10, v10, v8
	v_cmp_lt_u32_e32 vcc_lo, v7, v8
	v_cndmask_b32_e32 v1, v1, v6, vcc_lo
.LBB0_14:
	s_or_b32 exec_lo, exec_lo, s36
.LBB0_15:
	s_delay_alu instid0(SALU_CYCLE_1)
	s_or_b32 exec_lo, exec_lo, s35
.LBB0_16:
	s_delay_alu instid0(SALU_CYCLE_1) | instskip(SKIP_2) | instid1(VALU_DEP_1)
	s_or_b32 exec_lo, exec_lo, s34
	v_add_nc_u32_e32 v6, s22, v4
	s_mov_b32 s34, exec_lo
	v_cmpx_gt_i32_e64 s20, v6
	s_cbranch_execz .LBB0_28
; %bb.17:
	v_lshl_add_u64 v[6:7], v[2:3], 2, s[6:7]
	s_mov_b32 s35, exec_lo
	global_load_b32 v6, v[6:7], off
	s_wait_loadcnt 0x0
	v_cmpx_ne_u32_e64 s33, v6
	s_cbranch_execz .LBB0_19
; %bb.18:
	v_dual_sub_nc_u32 v7, 0, v6 :: v_dual_mov_b32 v9, 0
	s_delay_alu instid0(VALU_DEP_1) | instskip(NEXT) | instid1(VALU_DEP_1)
	v_max_i32_e32 v8, v6, v7
	v_mul_u64_e32 v[10:11], s[30:31], v[8:9]
	v_sub_nc_u32_e32 v10, 0, v1
	s_delay_alu instid0(VALU_DEP_2) | instskip(NEXT) | instid1(VALU_DEP_1)
	v_mul_lo_u32 v7, v11, s23
	v_dual_sub_nc_u32 v7, v8, v7 :: v_dual_max_i32 v8, v1, v10
	v_ashrrev_i32_e32 v10, 31, v6
	s_delay_alu instid0(VALU_DEP_2) | instskip(NEXT) | instid1(VALU_DEP_3)
	v_cmp_le_u32_e32 vcc_lo, s23, v7
	v_mul_u64_e32 v[12:13], s[30:31], v[8:9]
	v_dual_add_nc_u32 v12, 1, v11 :: v_dual_ashrrev_i32 v14, 31, v1
	s_delay_alu instid0(VALU_DEP_1) | instskip(SKIP_1) | instid1(VALU_DEP_1)
	v_dual_cndmask_b32 v11, v11, v12, vcc_lo :: v_dual_bitop2_b32 v10, s27, v10 bitop3:0x14
	v_subrev_nc_u32_e32 v12, s23, v7
	v_dual_cndmask_b32 v7, v7, v12 :: v_dual_add_nc_u32 v12, 1, v11
	s_delay_alu instid0(VALU_DEP_1) | instskip(NEXT) | instid1(VALU_DEP_2)
	v_cmp_le_u32_e32 vcc_lo, s23, v7
	v_dual_cndmask_b32 v7, v11, v12, vcc_lo :: v_dual_bitop2_b32 v14, s27, v14 bitop3:0x14
	s_delay_alu instid0(VALU_DEP_1) | instskip(SKIP_1) | instid1(VALU_DEP_1)
	v_xor_b32_e32 v7, v7, v10
	v_mul_lo_u32 v9, v13, s23
	v_dual_sub_nc_u32 v7, v7, v10 :: v_dual_sub_nc_u32 v8, v8, v9
	v_add_nc_u32_e32 v9, 1, v13
	s_delay_alu instid0(VALU_DEP_2) | instskip(NEXT) | instid1(VALU_DEP_1)
	v_cmp_le_u32_e64 s0, s23, v8
	v_cndmask_b32_e64 v9, v13, v9, s0
	v_subrev_nc_u32_e32 v15, s23, v8
	s_delay_alu instid0(VALU_DEP_1) | instskip(NEXT) | instid1(VALU_DEP_1)
	v_dual_add_nc_u32 v13, 1, v9 :: v_dual_cndmask_b32 v8, v8, v15, s0
	v_cmp_le_u32_e32 vcc_lo, s23, v8
	s_delay_alu instid0(VALU_DEP_2) | instskip(SKIP_1) | instid1(VALU_DEP_2)
	v_cndmask_b32_e32 v8, v9, v13, vcc_lo
	v_mul_lo_u32 v9, v7, s20
	v_dual_sub_nc_u32 v7, v5, v7 :: v_dual_bitop2_b32 v8, v8, v14 bitop3:0x14
	s_delay_alu instid0(VALU_DEP_1) | instskip(NEXT) | instid1(VALU_DEP_2)
	v_mul_lo_u32 v7, v7, v7
	v_sub_nc_u32_e32 v8, v8, v14
	s_delay_alu instid0(VALU_DEP_1) | instskip(NEXT) | instid1(VALU_DEP_1)
	v_mul_lo_u32 v10, v8, s20
	v_dual_sub_nc_u32 v10, v10, v1 :: v_dual_sub_nc_u32 v8, v5, v8
	s_delay_alu instid0(VALU_DEP_1) | instskip(NEXT) | instid1(VALU_DEP_2)
	v_dual_sub_nc_u32 v9, v9, v6 :: v_dual_add_nc_u32 v10, v10, v4
	v_mul_lo_u32 v8, v8, v8
	s_delay_alu instid0(VALU_DEP_2) | instskip(NEXT) | instid1(VALU_DEP_1)
	v_add_nc_u32_e32 v9, v9, v4
	v_mad_u32 v7, v9, v9, v7
	s_delay_alu instid0(VALU_DEP_3) | instskip(NEXT) | instid1(VALU_DEP_1)
	v_mad_u32 v8, v10, v10, v8
	v_cmp_lt_u32_e32 vcc_lo, v7, v8
	v_cndmask_b32_e32 v1, v1, v6, vcc_lo
.LBB0_19:
	s_or_b32 exec_lo, exec_lo, s35
	s_delay_alu instid0(SALU_CYCLE_1)
	s_mov_b32 s35, exec_lo
	v_cmpx_le_i32_e64 s22, v5
	s_cbranch_execz .LBB0_23
; %bb.20:
	v_lshl_add_u64 v[6:7], v[2:3], 2, s[16:17]
	s_mov_b32 s36, exec_lo
	global_load_b32 v6, v[6:7], off
	s_wait_loadcnt 0x0
	v_cmpx_ne_u32_e64 s33, v6
	s_cbranch_execz .LBB0_22
; %bb.21:
	v_dual_sub_nc_u32 v7, 0, v6 :: v_dual_mov_b32 v9, 0
	s_delay_alu instid0(VALU_DEP_1) | instskip(NEXT) | instid1(VALU_DEP_1)
	v_max_i32_e32 v8, v6, v7
	v_mul_u64_e32 v[10:11], s[30:31], v[8:9]
	v_sub_nc_u32_e32 v10, 0, v1
	s_delay_alu instid0(VALU_DEP_2) | instskip(NEXT) | instid1(VALU_DEP_1)
	v_mul_lo_u32 v7, v11, s23
	v_dual_sub_nc_u32 v7, v8, v7 :: v_dual_max_i32 v8, v1, v10
	v_ashrrev_i32_e32 v10, 31, v6
	s_delay_alu instid0(VALU_DEP_2) | instskip(NEXT) | instid1(VALU_DEP_3)
	v_cmp_le_u32_e32 vcc_lo, s23, v7
	v_mul_u64_e32 v[12:13], s[30:31], v[8:9]
	v_dual_add_nc_u32 v12, 1, v11 :: v_dual_ashrrev_i32 v14, 31, v1
	s_delay_alu instid0(VALU_DEP_1) | instskip(SKIP_1) | instid1(VALU_DEP_1)
	v_dual_cndmask_b32 v11, v11, v12, vcc_lo :: v_dual_bitop2_b32 v10, s27, v10 bitop3:0x14
	v_subrev_nc_u32_e32 v12, s23, v7
	v_dual_cndmask_b32 v7, v7, v12 :: v_dual_add_nc_u32 v12, 1, v11
	s_delay_alu instid0(VALU_DEP_1) | instskip(NEXT) | instid1(VALU_DEP_2)
	v_cmp_le_u32_e32 vcc_lo, s23, v7
	v_dual_cndmask_b32 v7, v11, v12, vcc_lo :: v_dual_bitop2_b32 v14, s27, v14 bitop3:0x14
	s_delay_alu instid0(VALU_DEP_1) | instskip(SKIP_1) | instid1(VALU_DEP_1)
	v_xor_b32_e32 v7, v7, v10
	v_mul_lo_u32 v9, v13, s23
	v_dual_sub_nc_u32 v7, v7, v10 :: v_dual_sub_nc_u32 v8, v8, v9
	v_add_nc_u32_e32 v9, 1, v13
	s_delay_alu instid0(VALU_DEP_2) | instskip(NEXT) | instid1(VALU_DEP_1)
	v_cmp_le_u32_e64 s0, s23, v8
	v_cndmask_b32_e64 v9, v13, v9, s0
	v_subrev_nc_u32_e32 v15, s23, v8
	s_delay_alu instid0(VALU_DEP_1) | instskip(NEXT) | instid1(VALU_DEP_1)
	v_dual_add_nc_u32 v13, 1, v9 :: v_dual_cndmask_b32 v8, v8, v15, s0
	v_cmp_le_u32_e32 vcc_lo, s23, v8
	s_delay_alu instid0(VALU_DEP_2) | instskip(SKIP_1) | instid1(VALU_DEP_2)
	v_cndmask_b32_e32 v8, v9, v13, vcc_lo
	v_mul_lo_u32 v9, v7, s20
	v_dual_sub_nc_u32 v7, v5, v7 :: v_dual_bitop2_b32 v8, v8, v14 bitop3:0x14
	s_delay_alu instid0(VALU_DEP_1) | instskip(NEXT) | instid1(VALU_DEP_2)
	v_mul_lo_u32 v7, v7, v7
	v_sub_nc_u32_e32 v8, v8, v14
	s_delay_alu instid0(VALU_DEP_1) | instskip(NEXT) | instid1(VALU_DEP_1)
	v_mul_lo_u32 v10, v8, s20
	v_dual_sub_nc_u32 v10, v10, v1 :: v_dual_sub_nc_u32 v8, v5, v8
	s_delay_alu instid0(VALU_DEP_1) | instskip(NEXT) | instid1(VALU_DEP_2)
	v_dual_sub_nc_u32 v9, v9, v6 :: v_dual_add_nc_u32 v10, v10, v4
	v_mul_lo_u32 v8, v8, v8
	s_delay_alu instid0(VALU_DEP_2) | instskip(NEXT) | instid1(VALU_DEP_1)
	v_add_nc_u32_e32 v9, v9, v4
	v_mad_u32 v7, v9, v9, v7
	s_delay_alu instid0(VALU_DEP_3) | instskip(NEXT) | instid1(VALU_DEP_1)
	v_mad_u32 v8, v10, v10, v8
	v_cmp_lt_u32_e32 vcc_lo, v7, v8
	v_cndmask_b32_e32 v1, v1, v6, vcc_lo
.LBB0_22:
	s_or_b32 exec_lo, exec_lo, s36
.LBB0_23:
	s_delay_alu instid0(SALU_CYCLE_1) | instskip(SKIP_2) | instid1(VALU_DEP_1)
	s_or_b32 exec_lo, exec_lo, s35
	v_add_nc_u32_e32 v6, s22, v5
	s_mov_b32 s35, exec_lo
	v_cmpx_gt_i32_e64 s21, v6
	s_cbranch_execz .LBB0_27
; %bb.24:
	v_lshl_add_u64 v[6:7], v[2:3], 2, s[14:15]
	s_mov_b32 s36, exec_lo
	global_load_b32 v6, v[6:7], off
	s_wait_loadcnt 0x0
	v_cmpx_ne_u32_e64 s33, v6
	s_cbranch_execz .LBB0_26
; %bb.25:
	v_dual_sub_nc_u32 v7, 0, v6 :: v_dual_mov_b32 v9, 0
	s_delay_alu instid0(VALU_DEP_1) | instskip(NEXT) | instid1(VALU_DEP_1)
	v_max_i32_e32 v8, v6, v7
	v_mul_u64_e32 v[10:11], s[30:31], v[8:9]
	v_sub_nc_u32_e32 v10, 0, v1
	s_delay_alu instid0(VALU_DEP_2) | instskip(NEXT) | instid1(VALU_DEP_1)
	v_mul_lo_u32 v7, v11, s23
	v_dual_sub_nc_u32 v7, v8, v7 :: v_dual_max_i32 v8, v1, v10
	v_ashrrev_i32_e32 v10, 31, v6
	s_delay_alu instid0(VALU_DEP_2) | instskip(NEXT) | instid1(VALU_DEP_3)
	v_cmp_le_u32_e32 vcc_lo, s23, v7
	v_mul_u64_e32 v[12:13], s[30:31], v[8:9]
	v_dual_add_nc_u32 v12, 1, v11 :: v_dual_ashrrev_i32 v14, 31, v1
	s_delay_alu instid0(VALU_DEP_1) | instskip(SKIP_1) | instid1(VALU_DEP_1)
	v_dual_cndmask_b32 v11, v11, v12, vcc_lo :: v_dual_bitop2_b32 v10, s27, v10 bitop3:0x14
	v_subrev_nc_u32_e32 v12, s23, v7
	v_dual_cndmask_b32 v7, v7, v12 :: v_dual_add_nc_u32 v12, 1, v11
	s_delay_alu instid0(VALU_DEP_1) | instskip(NEXT) | instid1(VALU_DEP_2)
	v_cmp_le_u32_e32 vcc_lo, s23, v7
	v_dual_cndmask_b32 v7, v11, v12, vcc_lo :: v_dual_bitop2_b32 v14, s27, v14 bitop3:0x14
	s_delay_alu instid0(VALU_DEP_1) | instskip(SKIP_1) | instid1(VALU_DEP_1)
	v_xor_b32_e32 v7, v7, v10
	v_mul_lo_u32 v9, v13, s23
	v_dual_sub_nc_u32 v7, v7, v10 :: v_dual_sub_nc_u32 v8, v8, v9
	v_add_nc_u32_e32 v9, 1, v13
	s_delay_alu instid0(VALU_DEP_2) | instskip(NEXT) | instid1(VALU_DEP_1)
	v_cmp_le_u32_e64 s0, s23, v8
	v_cndmask_b32_e64 v9, v13, v9, s0
	v_subrev_nc_u32_e32 v15, s23, v8
	s_delay_alu instid0(VALU_DEP_1) | instskip(NEXT) | instid1(VALU_DEP_1)
	v_dual_add_nc_u32 v13, 1, v9 :: v_dual_cndmask_b32 v8, v8, v15, s0
	v_cmp_le_u32_e32 vcc_lo, s23, v8
	s_delay_alu instid0(VALU_DEP_2) | instskip(SKIP_1) | instid1(VALU_DEP_2)
	v_cndmask_b32_e32 v8, v9, v13, vcc_lo
	v_mul_lo_u32 v9, v7, s20
	v_dual_sub_nc_u32 v7, v5, v7 :: v_dual_bitop2_b32 v8, v8, v14 bitop3:0x14
	s_delay_alu instid0(VALU_DEP_1) | instskip(NEXT) | instid1(VALU_DEP_2)
	v_mul_lo_u32 v7, v7, v7
	v_sub_nc_u32_e32 v8, v8, v14
	s_delay_alu instid0(VALU_DEP_1) | instskip(NEXT) | instid1(VALU_DEP_1)
	v_mul_lo_u32 v10, v8, s20
	v_dual_sub_nc_u32 v10, v10, v1 :: v_dual_sub_nc_u32 v8, v5, v8
	s_delay_alu instid0(VALU_DEP_1) | instskip(NEXT) | instid1(VALU_DEP_2)
	v_dual_sub_nc_u32 v9, v9, v6 :: v_dual_add_nc_u32 v10, v10, v4
	v_mul_lo_u32 v8, v8, v8
	s_delay_alu instid0(VALU_DEP_2) | instskip(NEXT) | instid1(VALU_DEP_1)
	v_add_nc_u32_e32 v9, v9, v4
	v_mad_u32 v7, v9, v9, v7
	s_delay_alu instid0(VALU_DEP_3) | instskip(NEXT) | instid1(VALU_DEP_1)
	v_mad_u32 v8, v10, v10, v8
	v_cmp_lt_u32_e32 vcc_lo, v7, v8
	v_cndmask_b32_e32 v1, v1, v6, vcc_lo
.LBB0_26:
	s_or_b32 exec_lo, exec_lo, s36
.LBB0_27:
	s_delay_alu instid0(SALU_CYCLE_1)
	s_or_b32 exec_lo, exec_lo, s35
.LBB0_28:
	s_delay_alu instid0(SALU_CYCLE_1) | instskip(NEXT) | instid1(SALU_CYCLE_1)
	s_or_b32 exec_lo, exec_lo, s34
	s_mov_b32 s34, exec_lo
	v_cmpx_le_i32_e64 s22, v5
	s_cbranch_execz .LBB0_32
; %bb.29:
	v_lshl_add_u64 v[6:7], v[2:3], 2, s[12:13]
	s_mov_b32 s35, exec_lo
	global_load_b32 v6, v[6:7], off
	s_wait_loadcnt 0x0
	v_cmpx_ne_u32_e64 s33, v6
	s_cbranch_execz .LBB0_31
; %bb.30:
	v_dual_sub_nc_u32 v7, 0, v6 :: v_dual_mov_b32 v9, 0
	s_delay_alu instid0(VALU_DEP_1) | instskip(NEXT) | instid1(VALU_DEP_1)
	v_max_i32_e32 v8, v6, v7
	v_mul_u64_e32 v[10:11], s[30:31], v[8:9]
	v_sub_nc_u32_e32 v10, 0, v1
	s_delay_alu instid0(VALU_DEP_2) | instskip(NEXT) | instid1(VALU_DEP_1)
	v_mul_lo_u32 v7, v11, s23
	v_dual_sub_nc_u32 v7, v8, v7 :: v_dual_max_i32 v8, v1, v10
	v_ashrrev_i32_e32 v10, 31, v6
	s_delay_alu instid0(VALU_DEP_2) | instskip(NEXT) | instid1(VALU_DEP_3)
	v_cmp_le_u32_e32 vcc_lo, s23, v7
	v_mul_u64_e32 v[12:13], s[30:31], v[8:9]
	v_dual_add_nc_u32 v12, 1, v11 :: v_dual_ashrrev_i32 v14, 31, v1
	s_delay_alu instid0(VALU_DEP_1) | instskip(SKIP_1) | instid1(VALU_DEP_1)
	v_dual_cndmask_b32 v11, v11, v12, vcc_lo :: v_dual_bitop2_b32 v10, s27, v10 bitop3:0x14
	v_subrev_nc_u32_e32 v12, s23, v7
	v_dual_cndmask_b32 v7, v7, v12 :: v_dual_add_nc_u32 v12, 1, v11
	s_delay_alu instid0(VALU_DEP_1) | instskip(NEXT) | instid1(VALU_DEP_2)
	v_cmp_le_u32_e32 vcc_lo, s23, v7
	v_dual_cndmask_b32 v7, v11, v12, vcc_lo :: v_dual_bitop2_b32 v14, s27, v14 bitop3:0x14
	s_delay_alu instid0(VALU_DEP_1) | instskip(SKIP_1) | instid1(VALU_DEP_1)
	v_xor_b32_e32 v7, v7, v10
	v_mul_lo_u32 v9, v13, s23
	v_dual_sub_nc_u32 v7, v7, v10 :: v_dual_sub_nc_u32 v8, v8, v9
	v_add_nc_u32_e32 v9, 1, v13
	s_delay_alu instid0(VALU_DEP_2) | instskip(NEXT) | instid1(VALU_DEP_1)
	v_cmp_le_u32_e64 s0, s23, v8
	v_cndmask_b32_e64 v9, v13, v9, s0
	v_subrev_nc_u32_e32 v15, s23, v8
	s_delay_alu instid0(VALU_DEP_1) | instskip(NEXT) | instid1(VALU_DEP_1)
	v_dual_add_nc_u32 v13, 1, v9 :: v_dual_cndmask_b32 v8, v8, v15, s0
	v_cmp_le_u32_e32 vcc_lo, s23, v8
	s_delay_alu instid0(VALU_DEP_2) | instskip(SKIP_1) | instid1(VALU_DEP_2)
	v_cndmask_b32_e32 v8, v9, v13, vcc_lo
	v_mul_lo_u32 v9, v7, s20
	v_dual_sub_nc_u32 v7, v5, v7 :: v_dual_bitop2_b32 v8, v8, v14 bitop3:0x14
	s_delay_alu instid0(VALU_DEP_1) | instskip(NEXT) | instid1(VALU_DEP_2)
	v_mul_lo_u32 v7, v7, v7
	v_sub_nc_u32_e32 v8, v8, v14
	s_delay_alu instid0(VALU_DEP_1) | instskip(NEXT) | instid1(VALU_DEP_1)
	v_mul_lo_u32 v10, v8, s20
	v_dual_sub_nc_u32 v10, v10, v1 :: v_dual_sub_nc_u32 v8, v5, v8
	s_delay_alu instid0(VALU_DEP_1) | instskip(NEXT) | instid1(VALU_DEP_2)
	v_dual_sub_nc_u32 v9, v9, v6 :: v_dual_add_nc_u32 v10, v10, v4
	v_mul_lo_u32 v8, v8, v8
	s_delay_alu instid0(VALU_DEP_2) | instskip(NEXT) | instid1(VALU_DEP_1)
	v_add_nc_u32_e32 v9, v9, v4
	v_mad_u32 v7, v9, v9, v7
	s_delay_alu instid0(VALU_DEP_3) | instskip(NEXT) | instid1(VALU_DEP_1)
	v_mad_u32 v8, v10, v10, v8
	v_cmp_lt_u32_e32 vcc_lo, v7, v8
	v_cndmask_b32_e32 v1, v1, v6, vcc_lo
.LBB0_31:
	s_or_b32 exec_lo, exec_lo, s35
.LBB0_32:
	s_delay_alu instid0(SALU_CYCLE_1) | instskip(SKIP_2) | instid1(VALU_DEP_1)
	s_or_b32 exec_lo, exec_lo, s34
	v_add_nc_u32_e32 v6, s22, v5
	s_mov_b32 s34, exec_lo
	v_cmpx_gt_i32_e64 s21, v6
	s_cbranch_execz .LBB0_36
; %bb.33:
	v_lshl_add_u64 v[6:7], v[2:3], 2, s[8:9]
	global_load_b32 v6, v[6:7], off
	s_wait_loadcnt 0x0
	v_cmp_ne_u32_e32 vcc_lo, s33, v6
	s_and_saveexec_b32 s33, vcc_lo
	s_cbranch_execz .LBB0_35
; %bb.34:
	v_dual_sub_nc_u32 v7, 0, v6 :: v_dual_mov_b32 v9, 0
	s_delay_alu instid0(VALU_DEP_1) | instskip(NEXT) | instid1(VALU_DEP_1)
	v_max_i32_e32 v8, v6, v7
	v_mul_u64_e32 v[10:11], s[30:31], v[8:9]
	v_sub_nc_u32_e32 v10, 0, v1
	s_delay_alu instid0(VALU_DEP_2) | instskip(NEXT) | instid1(VALU_DEP_1)
	v_mul_lo_u32 v7, v11, s23
	v_dual_sub_nc_u32 v7, v8, v7 :: v_dual_max_i32 v8, v1, v10
	v_ashrrev_i32_e32 v10, 31, v6
	s_delay_alu instid0(VALU_DEP_2) | instskip(NEXT) | instid1(VALU_DEP_3)
	v_cmp_le_u32_e32 vcc_lo, s23, v7
	v_mul_u64_e32 v[12:13], s[30:31], v[8:9]
	v_dual_add_nc_u32 v12, 1, v11 :: v_dual_ashrrev_i32 v14, 31, v1
	s_delay_alu instid0(VALU_DEP_1) | instskip(SKIP_1) | instid1(VALU_DEP_1)
	v_dual_cndmask_b32 v11, v11, v12, vcc_lo :: v_dual_bitop2_b32 v10, s27, v10 bitop3:0x14
	v_subrev_nc_u32_e32 v12, s23, v7
	v_dual_cndmask_b32 v7, v7, v12 :: v_dual_add_nc_u32 v12, 1, v11
	s_delay_alu instid0(VALU_DEP_1) | instskip(NEXT) | instid1(VALU_DEP_2)
	v_cmp_le_u32_e32 vcc_lo, s23, v7
	v_dual_cndmask_b32 v7, v11, v12, vcc_lo :: v_dual_bitop2_b32 v14, s27, v14 bitop3:0x14
	s_delay_alu instid0(VALU_DEP_1) | instskip(SKIP_1) | instid1(VALU_DEP_1)
	v_xor_b32_e32 v7, v7, v10
	v_mul_lo_u32 v9, v13, s23
	v_dual_sub_nc_u32 v7, v7, v10 :: v_dual_sub_nc_u32 v8, v8, v9
	v_add_nc_u32_e32 v9, 1, v13
	s_delay_alu instid0(VALU_DEP_2) | instskip(NEXT) | instid1(VALU_DEP_1)
	v_cmp_le_u32_e64 s0, s23, v8
	v_cndmask_b32_e64 v9, v13, v9, s0
	v_subrev_nc_u32_e32 v15, s23, v8
	s_delay_alu instid0(VALU_DEP_1) | instskip(NEXT) | instid1(VALU_DEP_1)
	v_dual_add_nc_u32 v13, 1, v9 :: v_dual_cndmask_b32 v8, v8, v15, s0
	v_cmp_le_u32_e32 vcc_lo, s23, v8
	s_delay_alu instid0(VALU_DEP_2) | instskip(SKIP_1) | instid1(VALU_DEP_2)
	v_cndmask_b32_e32 v8, v9, v13, vcc_lo
	v_mul_lo_u32 v9, v7, s20
	v_dual_sub_nc_u32 v7, v5, v7 :: v_dual_bitop2_b32 v8, v8, v14 bitop3:0x14
	s_delay_alu instid0(VALU_DEP_1) | instskip(NEXT) | instid1(VALU_DEP_2)
	v_mul_lo_u32 v7, v7, v7
	v_sub_nc_u32_e32 v8, v8, v14
	s_delay_alu instid0(VALU_DEP_1) | instskip(SKIP_2) | instid1(VALU_DEP_2)
	v_mul_lo_u32 v10, v8, s20
	v_sub_nc_u32_e32 v5, v5, v8
	v_sub_nc_u32_e32 v8, v9, v6
	v_mul_lo_u32 v5, v5, v5
	s_delay_alu instid0(VALU_DEP_2) | instskip(NEXT) | instid1(VALU_DEP_1)
	v_dual_add_nc_u32 v8, v8, v4 :: v_dual_sub_nc_u32 v9, v10, v1
	v_mad_u32 v7, v8, v8, v7
	s_delay_alu instid0(VALU_DEP_2) | instskip(NEXT) | instid1(VALU_DEP_1)
	v_add_nc_u32_e32 v4, v9, v4
	v_mad_u32 v4, v4, v4, v5
	s_delay_alu instid0(VALU_DEP_1)
	v_cmp_lt_u32_e32 vcc_lo, v7, v4
	v_cndmask_b32_e32 v1, v1, v6, vcc_lo
.LBB0_35:
	s_or_b32 exec_lo, exec_lo, s33
.LBB0_36:
	s_delay_alu instid0(SALU_CYCLE_1)
	s_or_b32 exec_lo, exec_lo, s34
	v_lshl_add_u64 v[2:3], v[2:3], 2, s[28:29]
	s_wait_loadcnt 0x0
	flat_store_b32 v[2:3], v1
.LBB0_37:
	s_wait_xcnt 0x0
	s_or_b32 exec_lo, exec_lo, s1
	s_cbranch_execnz .LBB0_2
.LBB0_38:
	v_mov_b32_e32 v1, 0
	s_ashr_i32 s23, s20, 31
	s_delay_alu instid0(VALU_DEP_1) | instskip(SKIP_1) | instid1(SALU_CYCLE_1)
	v_add_nc_u64_e32 v[0:1], s[2:3], v[0:1]
	s_abs_i32 s3, s20
	s_cvt_f32_u32 s0, s3
	s_sub_co_i32 s1, 0, s3
	s_wait_kmcnt 0x0
	s_delay_alu instid0(VALU_DEP_1)
	v_lshl_add_u64 v[2:3], v[0:1], 2, s[4:5]
	s_mov_b32 s5, 0
	global_load_b32 v2, v[2:3], off
	s_wait_xcnt 0x0
	v_rcp_iflag_f32_e32 v3, s0
	v_nop
	s_delay_alu instid0(TRANS32_DEP_1) | instskip(SKIP_3) | instid1(VALU_DEP_1)
	v_readfirstlane_b32 s0, v3
	v_add_nc_u32_e32 v3, s26, v0
	s_mov_b32 s26, exec_lo
	s_mul_f32 s0, s0, 0x4f7ffffe
	v_sub_nc_u32_e32 v4, 0, v3
	s_delay_alu instid0(SALU_CYCLE_2) | instskip(NEXT) | instid1(VALU_DEP_1)
	s_cvt_u32_f32 s0, s0
	v_max_i32_e32 v4, v3, v4
	s_delay_alu instid0(SALU_CYCLE_2) | instskip(NEXT) | instid1(SALU_CYCLE_1)
	s_mul_i32 s1, s1, s0
	s_mul_hi_u32 s1, s0, s1
	s_delay_alu instid0(SALU_CYCLE_1)
	s_add_co_i32 s4, s0, s1
	s_delay_alu instid0(VALU_DEP_1) | instid1(SALU_CYCLE_1)
	v_mul_hi_u32 v5, v4, s4
	s_delay_alu instid0(VALU_DEP_1) | instskip(NEXT) | instid1(VALU_DEP_1)
	v_mul_lo_u32 v6, v5, s3
	v_dual_sub_nc_u32 v4, v4, v6 :: v_dual_add_nc_u32 v6, 1, v5
	s_delay_alu instid0(VALU_DEP_1) | instskip(NEXT) | instid1(VALU_DEP_2)
	v_cmp_le_u32_e32 vcc_lo, s3, v4
	v_dual_cndmask_b32 v5, v5, v6 :: v_dual_ashrrev_i32 v6, 31, v3
	v_subrev_nc_u32_e32 v7, s3, v4
	s_delay_alu instid0(VALU_DEP_1) | instskip(NEXT) | instid1(VALU_DEP_1)
	v_dual_cndmask_b32 v4, v4, v7 :: v_dual_add_nc_u32 v7, 1, v5
	v_cmp_le_u32_e32 vcc_lo, s3, v4
	s_delay_alu instid0(VALU_DEP_2) | instskip(NEXT) | instid1(VALU_DEP_1)
	v_dual_cndmask_b32 v4, v5, v7, vcc_lo :: v_dual_bitop2_b32 v6, s23, v6 bitop3:0x14
	v_xor_b32_e32 v4, v4, v6
	s_delay_alu instid0(VALU_DEP_1) | instskip(NEXT) | instid1(VALU_DEP_1)
	v_sub_nc_u32_e32 v4, v4, v6
	v_mul_lo_u32 v5, v4, s20
	v_cmp_le_i32_e64 s0, s22, v4
	s_delay_alu instid0(VALU_DEP_2) | instskip(NEXT) | instid1(VALU_DEP_1)
	v_dual_sub_nc_u32 v3, v3, v5 :: v_dual_add_nc_u32 v5, s22, v4
	v_cmp_gt_i32_e32 vcc_lo, s21, v5
	s_mul_i32 s21, s21, s20
	s_delay_alu instid0(VALU_DEP_2)
	v_cmpx_le_i32_e64 s22, v3
	s_cbranch_execz .LBB0_50
; %bb.39:
	v_lshl_add_u64 v[6:7], v[0:1], 2, s[10:11]
	s_mov_b32 s10, exec_lo
	global_load_b32 v5, v[6:7], off
	s_wait_loadcnt 0x0
	v_cmpx_ne_u32_e64 s21, v5
	s_cbranch_execnz .LBB0_42
; %bb.40:
	s_or_b32 exec_lo, exec_lo, s10
	s_and_saveexec_b32 s10, s0
	s_cbranch_execnz .LBB0_43
.LBB0_41:
	s_or_b32 exec_lo, exec_lo, s10
	s_and_saveexec_b32 s10, vcc_lo
	s_cbranch_execnz .LBB0_46
	s_branch .LBB0_49
.LBB0_42:
	v_dual_mov_b32 v7, 0 :: v_dual_sub_nc_u32 v6, 0, v5
	s_delay_alu instid0(VALU_DEP_1) | instskip(NEXT) | instid1(VALU_DEP_1)
	v_max_i32_e32 v6, v5, v6
	v_mul_u64_e32 v[8:9], s[4:5], v[6:7]
	s_delay_alu instid0(VALU_DEP_1) | instskip(SKIP_1) | instid1(VALU_DEP_2)
	v_mul_lo_u32 v8, v9, s3
	v_dual_sub_nc_u32 v10, 0, v2 :: v_dual_add_nc_u32 v12, 1, v9
	v_sub_nc_u32_e32 v8, v6, v8
	s_delay_alu instid0(VALU_DEP_2) | instskip(NEXT) | instid1(VALU_DEP_2)
	v_max_i32_e32 v6, v2, v10
	v_cmp_le_u32_e64 s1, s3, v8
	s_delay_alu instid0(VALU_DEP_2) | instskip(NEXT) | instid1(VALU_DEP_2)
	v_mul_u64_e32 v[10:11], s[4:5], v[6:7]
	v_dual_ashrrev_i32 v10, 31, v5 :: v_dual_cndmask_b32 v9, v9, v12, s1
	v_subrev_nc_u32_e32 v12, s3, v8
	s_delay_alu instid0(VALU_DEP_1) | instskip(NEXT) | instid1(VALU_DEP_4)
	v_dual_cndmask_b32 v8, v8, v12, s1 :: v_dual_bitop2_b32 v10, s23, v10 bitop3:0x14
	v_mul_lo_u32 v7, v11, s3
	s_delay_alu instid0(VALU_DEP_1) | instskip(SKIP_1) | instid1(VALU_DEP_2)
	v_dual_ashrrev_i32 v13, 31, v2 :: v_dual_sub_nc_u32 v6, v6, v7
	v_add_nc_u32_e32 v7, 1, v11
	v_subrev_nc_u32_e32 v14, s3, v6
	v_cmp_le_u32_e64 s2, s3, v6
	s_delay_alu instid0(VALU_DEP_1) | instskip(NEXT) | instid1(VALU_DEP_3)
	v_dual_cndmask_b32 v7, v11, v7, s2 :: v_dual_add_nc_u32 v11, 1, v9
	v_cndmask_b32_e64 v6, v6, v14, s2
	v_cmp_le_u32_e64 s1, s3, v8
	s_delay_alu instid0(VALU_DEP_3) | instskip(NEXT) | instid1(VALU_DEP_2)
	v_dual_add_nc_u32 v12, 1, v7 :: v_dual_bitop2_b32 v13, s23, v13 bitop3:0x14
	v_cndmask_b32_e64 v8, v9, v11, s1
	s_delay_alu instid0(VALU_DEP_4) | instskip(NEXT) | instid1(VALU_DEP_1)
	v_cmp_le_u32_e64 s1, s3, v6
	v_dual_cndmask_b32 v6, v7, v12, s1 :: v_dual_bitop2_b32 v7, v8, v10 bitop3:0x14
	s_delay_alu instid0(VALU_DEP_1) | instskip(NEXT) | instid1(VALU_DEP_1)
	v_dual_sub_nc_u32 v7, v7, v10 :: v_dual_bitop2_b32 v6, v6, v13 bitop3:0x14
	v_sub_nc_u32_e32 v6, v6, v13
	s_delay_alu instid0(VALU_DEP_2) | instskip(SKIP_1) | instid1(VALU_DEP_3)
	v_mul_lo_u32 v8, v7, s20
	v_sub_nc_u32_e32 v7, v4, v7
	v_mul_lo_u32 v9, v6, s20
	s_delay_alu instid0(VALU_DEP_2) | instskip(NEXT) | instid1(VALU_DEP_2)
	v_mul_lo_u32 v7, v7, v7
	v_dual_sub_nc_u32 v8, v8, v5 :: v_dual_sub_nc_u32 v9, v9, v2
	v_sub_nc_u32_e32 v6, v4, v6
	s_delay_alu instid0(VALU_DEP_2) | instskip(NEXT) | instid1(VALU_DEP_2)
	v_dual_add_nc_u32 v8, v8, v3 :: v_dual_add_nc_u32 v9, v9, v3
	v_mul_lo_u32 v6, v6, v6
	s_delay_alu instid0(VALU_DEP_2) | instskip(NEXT) | instid1(VALU_DEP_2)
	v_mad_u32 v7, v8, v8, v7
	v_mad_u32 v6, v9, v9, v6
	s_delay_alu instid0(VALU_DEP_1) | instskip(NEXT) | instid1(VALU_DEP_1)
	v_cmp_lt_u32_e64 s1, v7, v6
	v_cndmask_b32_e64 v2, v2, v5, s1
	s_or_b32 exec_lo, exec_lo, s10
	s_and_saveexec_b32 s10, s0
	s_cbranch_execz .LBB0_41
.LBB0_43:
	v_lshl_add_u64 v[6:7], v[0:1], 2, s[24:25]
	s_mov_b32 s11, exec_lo
	global_load_b32 v5, v[6:7], off
	s_wait_loadcnt 0x0
	v_cmpx_ne_u32_e64 s21, v5
	s_cbranch_execz .LBB0_45
; %bb.44:
	v_dual_mov_b32 v7, 0 :: v_dual_sub_nc_u32 v6, 0, v5
	s_delay_alu instid0(VALU_DEP_1) | instskip(NEXT) | instid1(VALU_DEP_1)
	v_max_i32_e32 v6, v5, v6
	v_mul_u64_e32 v[8:9], s[4:5], v[6:7]
	s_delay_alu instid0(VALU_DEP_1) | instskip(SKIP_1) | instid1(VALU_DEP_2)
	v_mul_lo_u32 v8, v9, s3
	v_dual_sub_nc_u32 v10, 0, v2 :: v_dual_add_nc_u32 v12, 1, v9
	v_sub_nc_u32_e32 v8, v6, v8
	s_delay_alu instid0(VALU_DEP_2) | instskip(NEXT) | instid1(VALU_DEP_2)
	v_max_i32_e32 v6, v2, v10
	v_cmp_le_u32_e64 s1, s3, v8
	s_delay_alu instid0(VALU_DEP_2) | instskip(NEXT) | instid1(VALU_DEP_2)
	v_mul_u64_e32 v[10:11], s[4:5], v[6:7]
	v_dual_ashrrev_i32 v10, 31, v5 :: v_dual_cndmask_b32 v9, v9, v12, s1
	v_subrev_nc_u32_e32 v12, s3, v8
	s_delay_alu instid0(VALU_DEP_1) | instskip(NEXT) | instid1(VALU_DEP_4)
	v_dual_cndmask_b32 v8, v8, v12, s1 :: v_dual_bitop2_b32 v10, s23, v10 bitop3:0x14
	v_mul_lo_u32 v7, v11, s3
	s_delay_alu instid0(VALU_DEP_1) | instskip(SKIP_1) | instid1(VALU_DEP_2)
	v_dual_ashrrev_i32 v13, 31, v2 :: v_dual_sub_nc_u32 v6, v6, v7
	v_add_nc_u32_e32 v7, 1, v11
	v_subrev_nc_u32_e32 v14, s3, v6
	v_cmp_le_u32_e64 s2, s3, v6
	s_delay_alu instid0(VALU_DEP_1) | instskip(NEXT) | instid1(VALU_DEP_3)
	v_dual_cndmask_b32 v7, v11, v7, s2 :: v_dual_add_nc_u32 v11, 1, v9
	v_cndmask_b32_e64 v6, v6, v14, s2
	v_cmp_le_u32_e64 s1, s3, v8
	s_delay_alu instid0(VALU_DEP_3) | instskip(NEXT) | instid1(VALU_DEP_2)
	v_dual_add_nc_u32 v12, 1, v7 :: v_dual_bitop2_b32 v13, s23, v13 bitop3:0x14
	v_cndmask_b32_e64 v8, v9, v11, s1
	s_delay_alu instid0(VALU_DEP_4) | instskip(NEXT) | instid1(VALU_DEP_1)
	v_cmp_le_u32_e64 s1, s3, v6
	v_dual_cndmask_b32 v6, v7, v12, s1 :: v_dual_bitop2_b32 v7, v8, v10 bitop3:0x14
	s_delay_alu instid0(VALU_DEP_1) | instskip(NEXT) | instid1(VALU_DEP_1)
	v_dual_sub_nc_u32 v7, v7, v10 :: v_dual_bitop2_b32 v6, v6, v13 bitop3:0x14
	v_sub_nc_u32_e32 v6, v6, v13
	s_delay_alu instid0(VALU_DEP_2) | instskip(SKIP_1) | instid1(VALU_DEP_3)
	v_mul_lo_u32 v8, v7, s20
	v_sub_nc_u32_e32 v7, v4, v7
	v_mul_lo_u32 v9, v6, s20
	s_delay_alu instid0(VALU_DEP_2) | instskip(NEXT) | instid1(VALU_DEP_2)
	v_mul_lo_u32 v7, v7, v7
	v_dual_sub_nc_u32 v8, v8, v5 :: v_dual_sub_nc_u32 v9, v9, v2
	v_sub_nc_u32_e32 v6, v4, v6
	s_delay_alu instid0(VALU_DEP_2) | instskip(NEXT) | instid1(VALU_DEP_2)
	v_dual_add_nc_u32 v8, v8, v3 :: v_dual_add_nc_u32 v9, v9, v3
	v_mul_lo_u32 v6, v6, v6
	s_delay_alu instid0(VALU_DEP_2) | instskip(NEXT) | instid1(VALU_DEP_2)
	v_mad_u32 v7, v8, v8, v7
	v_mad_u32 v6, v9, v9, v6
	s_delay_alu instid0(VALU_DEP_1) | instskip(NEXT) | instid1(VALU_DEP_1)
	v_cmp_lt_u32_e64 s1, v7, v6
	v_cndmask_b32_e64 v2, v2, v5, s1
.LBB0_45:
	s_or_b32 exec_lo, exec_lo, s11
	s_delay_alu instid0(SALU_CYCLE_1)
	s_or_b32 exec_lo, exec_lo, s10
	s_and_saveexec_b32 s10, vcc_lo
	s_cbranch_execz .LBB0_49
.LBB0_46:
	v_lshl_add_u64 v[6:7], v[0:1], 2, s[18:19]
	s_mov_b32 s11, exec_lo
	global_load_b32 v5, v[6:7], off
	s_wait_loadcnt 0x0
	v_cmpx_ne_u32_e64 s21, v5
	s_cbranch_execz .LBB0_48
; %bb.47:
	v_dual_mov_b32 v7, 0 :: v_dual_sub_nc_u32 v6, 0, v5
	s_delay_alu instid0(VALU_DEP_1) | instskip(NEXT) | instid1(VALU_DEP_1)
	v_max_i32_e32 v6, v5, v6
	v_mul_u64_e32 v[8:9], s[4:5], v[6:7]
	s_delay_alu instid0(VALU_DEP_1) | instskip(SKIP_1) | instid1(VALU_DEP_2)
	v_mul_lo_u32 v8, v9, s3
	v_dual_sub_nc_u32 v10, 0, v2 :: v_dual_add_nc_u32 v12, 1, v9
	v_sub_nc_u32_e32 v8, v6, v8
	s_delay_alu instid0(VALU_DEP_2) | instskip(NEXT) | instid1(VALU_DEP_2)
	v_max_i32_e32 v6, v2, v10
	v_cmp_le_u32_e64 s1, s3, v8
	s_delay_alu instid0(VALU_DEP_2) | instskip(NEXT) | instid1(VALU_DEP_2)
	v_mul_u64_e32 v[10:11], s[4:5], v[6:7]
	v_dual_ashrrev_i32 v10, 31, v5 :: v_dual_cndmask_b32 v9, v9, v12, s1
	v_subrev_nc_u32_e32 v12, s3, v8
	s_delay_alu instid0(VALU_DEP_1) | instskip(NEXT) | instid1(VALU_DEP_4)
	v_dual_cndmask_b32 v8, v8, v12, s1 :: v_dual_bitop2_b32 v10, s23, v10 bitop3:0x14
	v_mul_lo_u32 v7, v11, s3
	s_delay_alu instid0(VALU_DEP_1) | instskip(SKIP_1) | instid1(VALU_DEP_2)
	v_dual_ashrrev_i32 v13, 31, v2 :: v_dual_sub_nc_u32 v6, v6, v7
	v_add_nc_u32_e32 v7, 1, v11
	v_subrev_nc_u32_e32 v14, s3, v6
	v_cmp_le_u32_e64 s2, s3, v6
	s_delay_alu instid0(VALU_DEP_1) | instskip(NEXT) | instid1(VALU_DEP_3)
	v_dual_cndmask_b32 v7, v11, v7, s2 :: v_dual_add_nc_u32 v11, 1, v9
	v_cndmask_b32_e64 v6, v6, v14, s2
	v_cmp_le_u32_e64 s1, s3, v8
	s_delay_alu instid0(VALU_DEP_3) | instskip(NEXT) | instid1(VALU_DEP_2)
	v_dual_add_nc_u32 v12, 1, v7 :: v_dual_bitop2_b32 v13, s23, v13 bitop3:0x14
	v_cndmask_b32_e64 v8, v9, v11, s1
	s_delay_alu instid0(VALU_DEP_4) | instskip(NEXT) | instid1(VALU_DEP_1)
	v_cmp_le_u32_e64 s1, s3, v6
	v_dual_cndmask_b32 v6, v7, v12, s1 :: v_dual_bitop2_b32 v7, v8, v10 bitop3:0x14
	s_delay_alu instid0(VALU_DEP_1) | instskip(NEXT) | instid1(VALU_DEP_1)
	v_dual_sub_nc_u32 v7, v7, v10 :: v_dual_bitop2_b32 v6, v6, v13 bitop3:0x14
	v_sub_nc_u32_e32 v6, v6, v13
	s_delay_alu instid0(VALU_DEP_2) | instskip(SKIP_1) | instid1(VALU_DEP_3)
	v_mul_lo_u32 v8, v7, s20
	v_sub_nc_u32_e32 v7, v4, v7
	v_mul_lo_u32 v9, v6, s20
	s_delay_alu instid0(VALU_DEP_2) | instskip(NEXT) | instid1(VALU_DEP_2)
	v_mul_lo_u32 v7, v7, v7
	v_dual_sub_nc_u32 v8, v8, v5 :: v_dual_sub_nc_u32 v9, v9, v2
	v_sub_nc_u32_e32 v6, v4, v6
	s_delay_alu instid0(VALU_DEP_2) | instskip(NEXT) | instid1(VALU_DEP_2)
	v_dual_add_nc_u32 v8, v8, v3 :: v_dual_add_nc_u32 v9, v9, v3
	v_mul_lo_u32 v6, v6, v6
	s_delay_alu instid0(VALU_DEP_2) | instskip(NEXT) | instid1(VALU_DEP_2)
	v_mad_u32 v7, v8, v8, v7
	v_mad_u32 v6, v9, v9, v6
	s_delay_alu instid0(VALU_DEP_1) | instskip(NEXT) | instid1(VALU_DEP_1)
	v_cmp_lt_u32_e64 s1, v7, v6
	v_cndmask_b32_e64 v2, v2, v5, s1
.LBB0_48:
	s_or_b32 exec_lo, exec_lo, s11
.LBB0_49:
	s_delay_alu instid0(SALU_CYCLE_1)
	s_or_b32 exec_lo, exec_lo, s10
.LBB0_50:
	s_delay_alu instid0(SALU_CYCLE_1) | instskip(SKIP_2) | instid1(VALU_DEP_1)
	s_or_b32 exec_lo, exec_lo, s26
	v_add_nc_u32_e32 v5, s22, v3
	s_mov_b32 s10, exec_lo
	v_cmpx_gt_i32_e64 s20, v5
	s_cbranch_execnz .LBB0_54
; %bb.51:
	s_or_b32 exec_lo, exec_lo, s10
	s_and_saveexec_b32 s2, s0
	s_cbranch_execnz .LBB0_65
.LBB0_52:
	s_or_b32 exec_lo, exec_lo, s2
	s_and_saveexec_b32 s1, vcc_lo
	s_cbranch_execnz .LBB0_68
.LBB0_53:
	s_or_b32 exec_lo, exec_lo, s1
	v_lshl_add_u64 v[0:1], v[0:1], 2, s[28:29]
	s_wait_loadcnt 0x0
	flat_store_b32 v[0:1], v2
	s_endpgm
.LBB0_54:
	v_lshl_add_u64 v[6:7], v[0:1], 2, s[6:7]
	s_mov_b32 s6, exec_lo
	global_load_b32 v5, v[6:7], off
	s_wait_loadcnt 0x0
	v_cmpx_ne_u32_e64 s21, v5
	s_cbranch_execnz .LBB0_57
; %bb.55:
	s_or_b32 exec_lo, exec_lo, s6
	s_and_saveexec_b32 s6, s0
	s_cbranch_execnz .LBB0_58
.LBB0_56:
	s_or_b32 exec_lo, exec_lo, s6
	s_and_saveexec_b32 s6, vcc_lo
	s_cbranch_execnz .LBB0_61
	s_branch .LBB0_64
.LBB0_57:
	v_dual_mov_b32 v7, 0 :: v_dual_sub_nc_u32 v6, 0, v5
	s_delay_alu instid0(VALU_DEP_1) | instskip(NEXT) | instid1(VALU_DEP_1)
	v_max_i32_e32 v6, v5, v6
	v_mul_u64_e32 v[8:9], s[4:5], v[6:7]
	s_delay_alu instid0(VALU_DEP_1) | instskip(SKIP_1) | instid1(VALU_DEP_2)
	v_mul_lo_u32 v8, v9, s3
	v_dual_sub_nc_u32 v10, 0, v2 :: v_dual_add_nc_u32 v12, 1, v9
	v_sub_nc_u32_e32 v8, v6, v8
	s_delay_alu instid0(VALU_DEP_2) | instskip(NEXT) | instid1(VALU_DEP_2)
	v_max_i32_e32 v6, v2, v10
	v_cmp_le_u32_e64 s1, s3, v8
	s_delay_alu instid0(VALU_DEP_2) | instskip(NEXT) | instid1(VALU_DEP_2)
	v_mul_u64_e32 v[10:11], s[4:5], v[6:7]
	v_dual_ashrrev_i32 v10, 31, v5 :: v_dual_cndmask_b32 v9, v9, v12, s1
	v_subrev_nc_u32_e32 v12, s3, v8
	s_delay_alu instid0(VALU_DEP_1) | instskip(NEXT) | instid1(VALU_DEP_4)
	v_dual_cndmask_b32 v8, v8, v12, s1 :: v_dual_bitop2_b32 v10, s23, v10 bitop3:0x14
	v_mul_lo_u32 v7, v11, s3
	s_delay_alu instid0(VALU_DEP_1) | instskip(SKIP_1) | instid1(VALU_DEP_2)
	v_dual_ashrrev_i32 v13, 31, v2 :: v_dual_sub_nc_u32 v6, v6, v7
	v_add_nc_u32_e32 v7, 1, v11
	v_subrev_nc_u32_e32 v14, s3, v6
	v_cmp_le_u32_e64 s2, s3, v6
	s_delay_alu instid0(VALU_DEP_1) | instskip(NEXT) | instid1(VALU_DEP_3)
	v_dual_cndmask_b32 v7, v11, v7, s2 :: v_dual_add_nc_u32 v11, 1, v9
	v_cndmask_b32_e64 v6, v6, v14, s2
	v_cmp_le_u32_e64 s1, s3, v8
	s_delay_alu instid0(VALU_DEP_3) | instskip(NEXT) | instid1(VALU_DEP_2)
	v_dual_add_nc_u32 v12, 1, v7 :: v_dual_bitop2_b32 v13, s23, v13 bitop3:0x14
	v_cndmask_b32_e64 v8, v9, v11, s1
	s_delay_alu instid0(VALU_DEP_4) | instskip(NEXT) | instid1(VALU_DEP_1)
	v_cmp_le_u32_e64 s1, s3, v6
	v_dual_cndmask_b32 v6, v7, v12, s1 :: v_dual_bitop2_b32 v7, v8, v10 bitop3:0x14
	s_delay_alu instid0(VALU_DEP_1) | instskip(NEXT) | instid1(VALU_DEP_1)
	v_dual_sub_nc_u32 v7, v7, v10 :: v_dual_bitop2_b32 v6, v6, v13 bitop3:0x14
	v_sub_nc_u32_e32 v6, v6, v13
	s_delay_alu instid0(VALU_DEP_2) | instskip(SKIP_1) | instid1(VALU_DEP_3)
	v_mul_lo_u32 v8, v7, s20
	v_sub_nc_u32_e32 v7, v4, v7
	v_mul_lo_u32 v9, v6, s20
	s_delay_alu instid0(VALU_DEP_2) | instskip(NEXT) | instid1(VALU_DEP_2)
	v_mul_lo_u32 v7, v7, v7
	v_dual_sub_nc_u32 v8, v8, v5 :: v_dual_sub_nc_u32 v9, v9, v2
	v_sub_nc_u32_e32 v6, v4, v6
	s_delay_alu instid0(VALU_DEP_2) | instskip(NEXT) | instid1(VALU_DEP_2)
	v_dual_add_nc_u32 v8, v8, v3 :: v_dual_add_nc_u32 v9, v9, v3
	v_mul_lo_u32 v6, v6, v6
	s_delay_alu instid0(VALU_DEP_2) | instskip(NEXT) | instid1(VALU_DEP_2)
	v_mad_u32 v7, v8, v8, v7
	v_mad_u32 v6, v9, v9, v6
	s_delay_alu instid0(VALU_DEP_1) | instskip(NEXT) | instid1(VALU_DEP_1)
	v_cmp_lt_u32_e64 s1, v7, v6
	v_cndmask_b32_e64 v2, v2, v5, s1
	s_or_b32 exec_lo, exec_lo, s6
	s_and_saveexec_b32 s6, s0
	s_cbranch_execz .LBB0_56
.LBB0_58:
	v_lshl_add_u64 v[6:7], v[0:1], 2, s[16:17]
	s_mov_b32 s7, exec_lo
	global_load_b32 v5, v[6:7], off
	s_wait_loadcnt 0x0
	v_cmpx_ne_u32_e64 s21, v5
	s_cbranch_execz .LBB0_60
; %bb.59:
	v_dual_mov_b32 v7, 0 :: v_dual_sub_nc_u32 v6, 0, v5
	s_delay_alu instid0(VALU_DEP_1) | instskip(NEXT) | instid1(VALU_DEP_1)
	v_max_i32_e32 v6, v5, v6
	v_mul_u64_e32 v[8:9], s[4:5], v[6:7]
	s_delay_alu instid0(VALU_DEP_1) | instskip(SKIP_1) | instid1(VALU_DEP_2)
	v_mul_lo_u32 v8, v9, s3
	v_dual_sub_nc_u32 v10, 0, v2 :: v_dual_add_nc_u32 v12, 1, v9
	v_sub_nc_u32_e32 v8, v6, v8
	s_delay_alu instid0(VALU_DEP_2) | instskip(NEXT) | instid1(VALU_DEP_2)
	v_max_i32_e32 v6, v2, v10
	v_cmp_le_u32_e64 s1, s3, v8
	s_delay_alu instid0(VALU_DEP_2) | instskip(NEXT) | instid1(VALU_DEP_2)
	v_mul_u64_e32 v[10:11], s[4:5], v[6:7]
	v_dual_ashrrev_i32 v10, 31, v5 :: v_dual_cndmask_b32 v9, v9, v12, s1
	v_subrev_nc_u32_e32 v12, s3, v8
	s_delay_alu instid0(VALU_DEP_1) | instskip(NEXT) | instid1(VALU_DEP_4)
	v_dual_cndmask_b32 v8, v8, v12, s1 :: v_dual_bitop2_b32 v10, s23, v10 bitop3:0x14
	v_mul_lo_u32 v7, v11, s3
	s_delay_alu instid0(VALU_DEP_1) | instskip(SKIP_1) | instid1(VALU_DEP_2)
	v_dual_ashrrev_i32 v13, 31, v2 :: v_dual_sub_nc_u32 v6, v6, v7
	v_add_nc_u32_e32 v7, 1, v11
	v_subrev_nc_u32_e32 v14, s3, v6
	v_cmp_le_u32_e64 s2, s3, v6
	s_delay_alu instid0(VALU_DEP_1) | instskip(NEXT) | instid1(VALU_DEP_3)
	v_dual_cndmask_b32 v7, v11, v7, s2 :: v_dual_add_nc_u32 v11, 1, v9
	v_cndmask_b32_e64 v6, v6, v14, s2
	v_cmp_le_u32_e64 s1, s3, v8
	s_delay_alu instid0(VALU_DEP_3) | instskip(NEXT) | instid1(VALU_DEP_2)
	v_dual_add_nc_u32 v12, 1, v7 :: v_dual_bitop2_b32 v13, s23, v13 bitop3:0x14
	v_cndmask_b32_e64 v8, v9, v11, s1
	s_delay_alu instid0(VALU_DEP_4) | instskip(NEXT) | instid1(VALU_DEP_1)
	v_cmp_le_u32_e64 s1, s3, v6
	v_dual_cndmask_b32 v6, v7, v12, s1 :: v_dual_bitop2_b32 v7, v8, v10 bitop3:0x14
	s_delay_alu instid0(VALU_DEP_1) | instskip(NEXT) | instid1(VALU_DEP_1)
	v_dual_sub_nc_u32 v7, v7, v10 :: v_dual_bitop2_b32 v6, v6, v13 bitop3:0x14
	v_sub_nc_u32_e32 v6, v6, v13
	s_delay_alu instid0(VALU_DEP_2) | instskip(SKIP_1) | instid1(VALU_DEP_3)
	v_mul_lo_u32 v8, v7, s20
	v_sub_nc_u32_e32 v7, v4, v7
	v_mul_lo_u32 v9, v6, s20
	s_delay_alu instid0(VALU_DEP_2) | instskip(NEXT) | instid1(VALU_DEP_2)
	v_mul_lo_u32 v7, v7, v7
	v_dual_sub_nc_u32 v8, v8, v5 :: v_dual_sub_nc_u32 v9, v9, v2
	v_sub_nc_u32_e32 v6, v4, v6
	s_delay_alu instid0(VALU_DEP_2) | instskip(NEXT) | instid1(VALU_DEP_2)
	v_dual_add_nc_u32 v8, v8, v3 :: v_dual_add_nc_u32 v9, v9, v3
	v_mul_lo_u32 v6, v6, v6
	s_delay_alu instid0(VALU_DEP_2) | instskip(NEXT) | instid1(VALU_DEP_2)
	v_mad_u32 v7, v8, v8, v7
	v_mad_u32 v6, v9, v9, v6
	s_delay_alu instid0(VALU_DEP_1) | instskip(NEXT) | instid1(VALU_DEP_1)
	v_cmp_lt_u32_e64 s1, v7, v6
	v_cndmask_b32_e64 v2, v2, v5, s1
.LBB0_60:
	s_or_b32 exec_lo, exec_lo, s7
	s_delay_alu instid0(SALU_CYCLE_1)
	s_or_b32 exec_lo, exec_lo, s6
	s_and_saveexec_b32 s6, vcc_lo
	s_cbranch_execz .LBB0_64
.LBB0_61:
	v_lshl_add_u64 v[6:7], v[0:1], 2, s[14:15]
	s_mov_b32 s7, exec_lo
	global_load_b32 v5, v[6:7], off
	s_wait_loadcnt 0x0
	v_cmpx_ne_u32_e64 s21, v5
	s_cbranch_execz .LBB0_63
; %bb.62:
	v_dual_mov_b32 v7, 0 :: v_dual_sub_nc_u32 v6, 0, v5
	s_delay_alu instid0(VALU_DEP_1) | instskip(NEXT) | instid1(VALU_DEP_1)
	v_max_i32_e32 v6, v5, v6
	v_mul_u64_e32 v[8:9], s[4:5], v[6:7]
	s_delay_alu instid0(VALU_DEP_1) | instskip(SKIP_1) | instid1(VALU_DEP_2)
	v_mul_lo_u32 v8, v9, s3
	v_dual_sub_nc_u32 v10, 0, v2 :: v_dual_add_nc_u32 v12, 1, v9
	v_sub_nc_u32_e32 v8, v6, v8
	s_delay_alu instid0(VALU_DEP_2) | instskip(NEXT) | instid1(VALU_DEP_2)
	v_max_i32_e32 v6, v2, v10
	v_cmp_le_u32_e64 s1, s3, v8
	s_delay_alu instid0(VALU_DEP_2) | instskip(NEXT) | instid1(VALU_DEP_2)
	v_mul_u64_e32 v[10:11], s[4:5], v[6:7]
	v_dual_ashrrev_i32 v10, 31, v5 :: v_dual_cndmask_b32 v9, v9, v12, s1
	v_subrev_nc_u32_e32 v12, s3, v8
	s_delay_alu instid0(VALU_DEP_1) | instskip(NEXT) | instid1(VALU_DEP_4)
	v_dual_cndmask_b32 v8, v8, v12, s1 :: v_dual_bitop2_b32 v10, s23, v10 bitop3:0x14
	v_mul_lo_u32 v7, v11, s3
	s_delay_alu instid0(VALU_DEP_1) | instskip(SKIP_1) | instid1(VALU_DEP_2)
	v_dual_ashrrev_i32 v13, 31, v2 :: v_dual_sub_nc_u32 v6, v6, v7
	v_add_nc_u32_e32 v7, 1, v11
	v_subrev_nc_u32_e32 v14, s3, v6
	v_cmp_le_u32_e64 s2, s3, v6
	s_delay_alu instid0(VALU_DEP_1) | instskip(NEXT) | instid1(VALU_DEP_3)
	v_dual_cndmask_b32 v7, v11, v7, s2 :: v_dual_add_nc_u32 v11, 1, v9
	v_cndmask_b32_e64 v6, v6, v14, s2
	v_cmp_le_u32_e64 s1, s3, v8
	s_delay_alu instid0(VALU_DEP_3) | instskip(NEXT) | instid1(VALU_DEP_2)
	v_dual_add_nc_u32 v12, 1, v7 :: v_dual_bitop2_b32 v13, s23, v13 bitop3:0x14
	v_cndmask_b32_e64 v8, v9, v11, s1
	s_delay_alu instid0(VALU_DEP_4) | instskip(NEXT) | instid1(VALU_DEP_1)
	v_cmp_le_u32_e64 s1, s3, v6
	v_dual_cndmask_b32 v6, v7, v12, s1 :: v_dual_bitop2_b32 v7, v8, v10 bitop3:0x14
	s_delay_alu instid0(VALU_DEP_1) | instskip(NEXT) | instid1(VALU_DEP_1)
	v_dual_sub_nc_u32 v7, v7, v10 :: v_dual_bitop2_b32 v6, v6, v13 bitop3:0x14
	v_sub_nc_u32_e32 v6, v6, v13
	s_delay_alu instid0(VALU_DEP_2) | instskip(SKIP_1) | instid1(VALU_DEP_3)
	v_mul_lo_u32 v8, v7, s20
	v_sub_nc_u32_e32 v7, v4, v7
	v_mul_lo_u32 v9, v6, s20
	s_delay_alu instid0(VALU_DEP_2) | instskip(NEXT) | instid1(VALU_DEP_2)
	v_mul_lo_u32 v7, v7, v7
	v_dual_sub_nc_u32 v8, v8, v5 :: v_dual_sub_nc_u32 v9, v9, v2
	v_sub_nc_u32_e32 v6, v4, v6
	s_delay_alu instid0(VALU_DEP_2) | instskip(NEXT) | instid1(VALU_DEP_2)
	v_dual_add_nc_u32 v8, v8, v3 :: v_dual_add_nc_u32 v9, v9, v3
	v_mul_lo_u32 v6, v6, v6
	s_delay_alu instid0(VALU_DEP_2) | instskip(NEXT) | instid1(VALU_DEP_2)
	v_mad_u32 v7, v8, v8, v7
	v_mad_u32 v6, v9, v9, v6
	s_delay_alu instid0(VALU_DEP_1) | instskip(NEXT) | instid1(VALU_DEP_1)
	v_cmp_lt_u32_e64 s1, v7, v6
	v_cndmask_b32_e64 v2, v2, v5, s1
.LBB0_63:
	s_or_b32 exec_lo, exec_lo, s7
.LBB0_64:
	s_delay_alu instid0(SALU_CYCLE_1) | instskip(NEXT) | instid1(SALU_CYCLE_1)
	s_or_b32 exec_lo, exec_lo, s6
	s_or_b32 exec_lo, exec_lo, s10
	s_and_saveexec_b32 s2, s0
	s_cbranch_execz .LBB0_52
.LBB0_65:
	v_lshl_add_u64 v[6:7], v[0:1], 2, s[12:13]
	s_mov_b32 s6, exec_lo
	global_load_b32 v5, v[6:7], off
	s_wait_loadcnt 0x0
	v_cmpx_ne_u32_e64 s21, v5
	s_cbranch_execz .LBB0_67
; %bb.66:
	v_dual_mov_b32 v7, 0 :: v_dual_sub_nc_u32 v6, 0, v5
	s_delay_alu instid0(VALU_DEP_1) | instskip(NEXT) | instid1(VALU_DEP_1)
	v_max_i32_e32 v6, v5, v6
	v_mul_u64_e32 v[8:9], s[4:5], v[6:7]
	s_delay_alu instid0(VALU_DEP_1) | instskip(SKIP_1) | instid1(VALU_DEP_2)
	v_mul_lo_u32 v8, v9, s3
	v_dual_sub_nc_u32 v10, 0, v2 :: v_dual_add_nc_u32 v12, 1, v9
	v_sub_nc_u32_e32 v8, v6, v8
	s_delay_alu instid0(VALU_DEP_2) | instskip(NEXT) | instid1(VALU_DEP_2)
	v_max_i32_e32 v6, v2, v10
	v_cmp_le_u32_e64 s0, s3, v8
	s_delay_alu instid0(VALU_DEP_2) | instskip(NEXT) | instid1(VALU_DEP_2)
	v_mul_u64_e32 v[10:11], s[4:5], v[6:7]
	v_dual_ashrrev_i32 v10, 31, v5 :: v_dual_cndmask_b32 v9, v9, v12, s0
	v_subrev_nc_u32_e32 v12, s3, v8
	s_delay_alu instid0(VALU_DEP_1) | instskip(NEXT) | instid1(VALU_DEP_4)
	v_dual_cndmask_b32 v8, v8, v12, s0 :: v_dual_bitop2_b32 v10, s23, v10 bitop3:0x14
	v_mul_lo_u32 v7, v11, s3
	s_delay_alu instid0(VALU_DEP_1) | instskip(SKIP_1) | instid1(VALU_DEP_2)
	v_dual_ashrrev_i32 v13, 31, v2 :: v_dual_sub_nc_u32 v6, v6, v7
	v_add_nc_u32_e32 v7, 1, v11
	v_subrev_nc_u32_e32 v14, s3, v6
	v_cmp_le_u32_e64 s1, s3, v6
	s_delay_alu instid0(VALU_DEP_1) | instskip(NEXT) | instid1(VALU_DEP_3)
	v_dual_cndmask_b32 v7, v11, v7, s1 :: v_dual_add_nc_u32 v11, 1, v9
	v_cndmask_b32_e64 v6, v6, v14, s1
	v_cmp_le_u32_e64 s0, s3, v8
	s_delay_alu instid0(VALU_DEP_3) | instskip(NEXT) | instid1(VALU_DEP_2)
	v_dual_add_nc_u32 v12, 1, v7 :: v_dual_bitop2_b32 v13, s23, v13 bitop3:0x14
	v_cndmask_b32_e64 v8, v9, v11, s0
	s_delay_alu instid0(VALU_DEP_4) | instskip(NEXT) | instid1(VALU_DEP_1)
	v_cmp_le_u32_e64 s0, s3, v6
	v_dual_cndmask_b32 v6, v7, v12, s0 :: v_dual_bitop2_b32 v7, v8, v10 bitop3:0x14
	s_delay_alu instid0(VALU_DEP_1) | instskip(NEXT) | instid1(VALU_DEP_1)
	v_dual_sub_nc_u32 v7, v7, v10 :: v_dual_bitop2_b32 v6, v6, v13 bitop3:0x14
	v_sub_nc_u32_e32 v6, v6, v13
	s_delay_alu instid0(VALU_DEP_2) | instskip(SKIP_1) | instid1(VALU_DEP_3)
	v_mul_lo_u32 v8, v7, s20
	v_sub_nc_u32_e32 v7, v4, v7
	v_mul_lo_u32 v9, v6, s20
	s_delay_alu instid0(VALU_DEP_2) | instskip(NEXT) | instid1(VALU_DEP_2)
	v_mul_lo_u32 v7, v7, v7
	v_dual_sub_nc_u32 v8, v8, v5 :: v_dual_sub_nc_u32 v9, v9, v2
	v_sub_nc_u32_e32 v6, v4, v6
	s_delay_alu instid0(VALU_DEP_2) | instskip(NEXT) | instid1(VALU_DEP_2)
	v_dual_add_nc_u32 v8, v8, v3 :: v_dual_add_nc_u32 v9, v9, v3
	v_mul_lo_u32 v6, v6, v6
	s_delay_alu instid0(VALU_DEP_2) | instskip(NEXT) | instid1(VALU_DEP_2)
	v_mad_u32 v7, v8, v8, v7
	v_mad_u32 v6, v9, v9, v6
	s_delay_alu instid0(VALU_DEP_1) | instskip(NEXT) | instid1(VALU_DEP_1)
	v_cmp_lt_u32_e64 s0, v7, v6
	v_cndmask_b32_e64 v2, v2, v5, s0
.LBB0_67:
	s_or_b32 exec_lo, exec_lo, s6
	s_delay_alu instid0(SALU_CYCLE_1)
	s_or_b32 exec_lo, exec_lo, s2
	s_and_saveexec_b32 s1, vcc_lo
	s_cbranch_execz .LBB0_53
.LBB0_68:
	v_lshl_add_u64 v[6:7], v[0:1], 2, s[8:9]
	s_mov_b32 s2, exec_lo
	global_load_b32 v5, v[6:7], off
	s_wait_loadcnt 0x0
	v_cmpx_ne_u32_e64 s21, v5
	s_cbranch_execz .LBB0_70
; %bb.69:
	v_dual_mov_b32 v7, 0 :: v_dual_sub_nc_u32 v6, 0, v5
	s_delay_alu instid0(VALU_DEP_1) | instskip(NEXT) | instid1(VALU_DEP_1)
	v_max_i32_e32 v6, v5, v6
	v_mul_u64_e32 v[8:9], s[4:5], v[6:7]
	s_delay_alu instid0(VALU_DEP_1) | instskip(SKIP_1) | instid1(VALU_DEP_2)
	v_mul_lo_u32 v8, v9, s3
	v_dual_sub_nc_u32 v10, 0, v2 :: v_dual_add_nc_u32 v12, 1, v9
	v_sub_nc_u32_e32 v8, v6, v8
	s_delay_alu instid0(VALU_DEP_2) | instskip(NEXT) | instid1(VALU_DEP_2)
	v_max_i32_e32 v6, v2, v10
	v_cmp_le_u32_e32 vcc_lo, s3, v8
	s_delay_alu instid0(VALU_DEP_2) | instskip(SKIP_2) | instid1(VALU_DEP_1)
	v_mul_u64_e32 v[10:11], s[4:5], v[6:7]
	v_dual_cndmask_b32 v9, v9, v12 :: v_dual_ashrrev_i32 v10, 31, v5
	v_subrev_nc_u32_e32 v12, s3, v8
	v_dual_cndmask_b32 v8, v8, v12, vcc_lo :: v_dual_bitop2_b32 v10, s23, v10 bitop3:0x14
	s_delay_alu instid0(VALU_DEP_4) | instskip(NEXT) | instid1(VALU_DEP_1)
	v_mul_lo_u32 v7, v11, s3
	v_dual_ashrrev_i32 v13, 31, v2 :: v_dual_sub_nc_u32 v6, v6, v7
	v_add_nc_u32_e32 v7, 1, v11
	s_delay_alu instid0(VALU_DEP_2) | instskip(SKIP_1) | instid1(VALU_DEP_1)
	v_subrev_nc_u32_e32 v14, s3, v6
	v_cmp_le_u32_e64 s0, s3, v6
	v_dual_cndmask_b32 v7, v11, v7, s0 :: v_dual_add_nc_u32 v11, 1, v9
	s_delay_alu instid0(VALU_DEP_3) | instskip(SKIP_1) | instid1(VALU_DEP_3)
	v_cndmask_b32_e64 v6, v6, v14, s0
	v_cmp_le_u32_e32 vcc_lo, s3, v8
	v_dual_add_nc_u32 v12, 1, v7 :: v_dual_bitop2_b32 v13, s23, v13 bitop3:0x14
	s_delay_alu instid0(VALU_DEP_4) | instskip(NEXT) | instid1(VALU_DEP_4)
	v_cndmask_b32_e32 v8, v9, v11, vcc_lo
	v_cmp_le_u32_e32 vcc_lo, s3, v6
	s_delay_alu instid0(VALU_DEP_2) | instskip(NEXT) | instid1(VALU_DEP_1)
	v_dual_cndmask_b32 v6, v7, v12, vcc_lo :: v_dual_bitop2_b32 v7, v8, v10 bitop3:0x14
	v_dual_sub_nc_u32 v7, v7, v10 :: v_dual_bitop2_b32 v6, v6, v13 bitop3:0x14
	s_delay_alu instid0(VALU_DEP_1) | instskip(NEXT) | instid1(VALU_DEP_2)
	v_sub_nc_u32_e32 v6, v6, v13
	v_mul_lo_u32 v8, v7, s20
	v_sub_nc_u32_e32 v7, v4, v7
	s_delay_alu instid0(VALU_DEP_3) | instskip(SKIP_1) | instid1(VALU_DEP_3)
	v_mul_lo_u32 v9, v6, s20
	v_sub_nc_u32_e32 v4, v4, v6
	v_mul_lo_u32 v6, v7, v7
	s_delay_alu instid0(VALU_DEP_3) | instskip(NEXT) | instid1(VALU_DEP_1)
	v_dual_sub_nc_u32 v7, v8, v5 :: v_dual_sub_nc_u32 v8, v9, v2
	v_add_nc_u32_e32 v7, v7, v3
	s_delay_alu instid0(VALU_DEP_4) | instskip(NEXT) | instid1(VALU_DEP_3)
	v_mul_lo_u32 v4, v4, v4
	v_add_nc_u32_e32 v3, v8, v3
	s_delay_alu instid0(VALU_DEP_3) | instskip(NEXT) | instid1(VALU_DEP_2)
	v_mad_u32 v6, v7, v7, v6
	v_mad_u32 v3, v3, v3, v4
	s_delay_alu instid0(VALU_DEP_1)
	v_cmp_lt_u32_e32 vcc_lo, v6, v3
	v_cndmask_b32_e32 v2, v2, v5, vcc_lo
.LBB0_70:
	s_or_b32 exec_lo, exec_lo, s2
	s_delay_alu instid0(SALU_CYCLE_1)
	s_or_b32 exec_lo, exec_lo, s1
	v_lshl_add_u64 v[0:1], v[0:1], 2, s[28:29]
	flat_store_b32 v[0:1], v2
	s_endpgm
	.section	.rodata,"a",@progbits
	.p2align	6, 0x0
	.amdhsa_kernel _ZN6thrust23THRUST_200600_302600_NS11hip_rocprim14__parallel_for6kernelILj256ENS1_11__transform17unary_transform_fINS0_12zip_iteratorINS0_5tupleINS0_6detail15normal_iteratorINS0_10device_ptrIiEEEESC_SC_SC_SC_SC_SC_SC_SC_NS0_17counting_iteratorIiNS0_11use_defaultESE_SE_EEEEEESC_NS4_14no_stencil_tagE10minFunctorNS4_21always_true_predicateEEElLj1EEEvT0_T1_SN_
		.amdhsa_group_segment_fixed_size 0
		.amdhsa_private_segment_fixed_size 0
		.amdhsa_kernarg_size 120
		.amdhsa_user_sgpr_count 2
		.amdhsa_user_sgpr_dispatch_ptr 0
		.amdhsa_user_sgpr_queue_ptr 0
		.amdhsa_user_sgpr_kernarg_segment_ptr 1
		.amdhsa_user_sgpr_dispatch_id 0
		.amdhsa_user_sgpr_kernarg_preload_length 0
		.amdhsa_user_sgpr_kernarg_preload_offset 0
		.amdhsa_user_sgpr_private_segment_size 0
		.amdhsa_wavefront_size32 1
		.amdhsa_uses_dynamic_stack 0
		.amdhsa_enable_private_segment 0
		.amdhsa_system_sgpr_workgroup_id_x 1
		.amdhsa_system_sgpr_workgroup_id_y 0
		.amdhsa_system_sgpr_workgroup_id_z 0
		.amdhsa_system_sgpr_workgroup_info 0
		.amdhsa_system_vgpr_workitem_id 0
		.amdhsa_next_free_vgpr 16
		.amdhsa_next_free_sgpr 37
		.amdhsa_named_barrier_count 0
		.amdhsa_reserve_vcc 1
		.amdhsa_float_round_mode_32 0
		.amdhsa_float_round_mode_16_64 0
		.amdhsa_float_denorm_mode_32 3
		.amdhsa_float_denorm_mode_16_64 3
		.amdhsa_fp16_overflow 0
		.amdhsa_memory_ordered 1
		.amdhsa_forward_progress 1
		.amdhsa_inst_pref_size 58
		.amdhsa_round_robin_scheduling 0
		.amdhsa_exception_fp_ieee_invalid_op 0
		.amdhsa_exception_fp_denorm_src 0
		.amdhsa_exception_fp_ieee_div_zero 0
		.amdhsa_exception_fp_ieee_overflow 0
		.amdhsa_exception_fp_ieee_underflow 0
		.amdhsa_exception_fp_ieee_inexact 0
		.amdhsa_exception_int_div_zero 0
	.end_amdhsa_kernel
	.section	.text._ZN6thrust23THRUST_200600_302600_NS11hip_rocprim14__parallel_for6kernelILj256ENS1_11__transform17unary_transform_fINS0_12zip_iteratorINS0_5tupleINS0_6detail15normal_iteratorINS0_10device_ptrIiEEEESC_SC_SC_SC_SC_SC_SC_SC_NS0_17counting_iteratorIiNS0_11use_defaultESE_SE_EEEEEESC_NS4_14no_stencil_tagE10minFunctorNS4_21always_true_predicateEEElLj1EEEvT0_T1_SN_,"axG",@progbits,_ZN6thrust23THRUST_200600_302600_NS11hip_rocprim14__parallel_for6kernelILj256ENS1_11__transform17unary_transform_fINS0_12zip_iteratorINS0_5tupleINS0_6detail15normal_iteratorINS0_10device_ptrIiEEEESC_SC_SC_SC_SC_SC_SC_SC_NS0_17counting_iteratorIiNS0_11use_defaultESE_SE_EEEEEESC_NS4_14no_stencil_tagE10minFunctorNS4_21always_true_predicateEEElLj1EEEvT0_T1_SN_,comdat
.Lfunc_end0:
	.size	_ZN6thrust23THRUST_200600_302600_NS11hip_rocprim14__parallel_for6kernelILj256ENS1_11__transform17unary_transform_fINS0_12zip_iteratorINS0_5tupleINS0_6detail15normal_iteratorINS0_10device_ptrIiEEEESC_SC_SC_SC_SC_SC_SC_SC_NS0_17counting_iteratorIiNS0_11use_defaultESE_SE_EEEEEESC_NS4_14no_stencil_tagE10minFunctorNS4_21always_true_predicateEEElLj1EEEvT0_T1_SN_, .Lfunc_end0-_ZN6thrust23THRUST_200600_302600_NS11hip_rocprim14__parallel_for6kernelILj256ENS1_11__transform17unary_transform_fINS0_12zip_iteratorINS0_5tupleINS0_6detail15normal_iteratorINS0_10device_ptrIiEEEESC_SC_SC_SC_SC_SC_SC_SC_NS0_17counting_iteratorIiNS0_11use_defaultESE_SE_EEEEEESC_NS4_14no_stencil_tagE10minFunctorNS4_21always_true_predicateEEElLj1EEEvT0_T1_SN_
                                        ; -- End function
	.set _ZN6thrust23THRUST_200600_302600_NS11hip_rocprim14__parallel_for6kernelILj256ENS1_11__transform17unary_transform_fINS0_12zip_iteratorINS0_5tupleINS0_6detail15normal_iteratorINS0_10device_ptrIiEEEESC_SC_SC_SC_SC_SC_SC_SC_NS0_17counting_iteratorIiNS0_11use_defaultESE_SE_EEEEEESC_NS4_14no_stencil_tagE10minFunctorNS4_21always_true_predicateEEElLj1EEEvT0_T1_SN_.num_vgpr, 16
	.set _ZN6thrust23THRUST_200600_302600_NS11hip_rocprim14__parallel_for6kernelILj256ENS1_11__transform17unary_transform_fINS0_12zip_iteratorINS0_5tupleINS0_6detail15normal_iteratorINS0_10device_ptrIiEEEESC_SC_SC_SC_SC_SC_SC_SC_NS0_17counting_iteratorIiNS0_11use_defaultESE_SE_EEEEEESC_NS4_14no_stencil_tagE10minFunctorNS4_21always_true_predicateEEElLj1EEEvT0_T1_SN_.num_agpr, 0
	.set _ZN6thrust23THRUST_200600_302600_NS11hip_rocprim14__parallel_for6kernelILj256ENS1_11__transform17unary_transform_fINS0_12zip_iteratorINS0_5tupleINS0_6detail15normal_iteratorINS0_10device_ptrIiEEEESC_SC_SC_SC_SC_SC_SC_SC_NS0_17counting_iteratorIiNS0_11use_defaultESE_SE_EEEEEESC_NS4_14no_stencil_tagE10minFunctorNS4_21always_true_predicateEEElLj1EEEvT0_T1_SN_.numbered_sgpr, 37
	.set _ZN6thrust23THRUST_200600_302600_NS11hip_rocprim14__parallel_for6kernelILj256ENS1_11__transform17unary_transform_fINS0_12zip_iteratorINS0_5tupleINS0_6detail15normal_iteratorINS0_10device_ptrIiEEEESC_SC_SC_SC_SC_SC_SC_SC_NS0_17counting_iteratorIiNS0_11use_defaultESE_SE_EEEEEESC_NS4_14no_stencil_tagE10minFunctorNS4_21always_true_predicateEEElLj1EEEvT0_T1_SN_.num_named_barrier, 0
	.set _ZN6thrust23THRUST_200600_302600_NS11hip_rocprim14__parallel_for6kernelILj256ENS1_11__transform17unary_transform_fINS0_12zip_iteratorINS0_5tupleINS0_6detail15normal_iteratorINS0_10device_ptrIiEEEESC_SC_SC_SC_SC_SC_SC_SC_NS0_17counting_iteratorIiNS0_11use_defaultESE_SE_EEEEEESC_NS4_14no_stencil_tagE10minFunctorNS4_21always_true_predicateEEElLj1EEEvT0_T1_SN_.private_seg_size, 0
	.set _ZN6thrust23THRUST_200600_302600_NS11hip_rocprim14__parallel_for6kernelILj256ENS1_11__transform17unary_transform_fINS0_12zip_iteratorINS0_5tupleINS0_6detail15normal_iteratorINS0_10device_ptrIiEEEESC_SC_SC_SC_SC_SC_SC_SC_NS0_17counting_iteratorIiNS0_11use_defaultESE_SE_EEEEEESC_NS4_14no_stencil_tagE10minFunctorNS4_21always_true_predicateEEElLj1EEEvT0_T1_SN_.uses_vcc, 1
	.set _ZN6thrust23THRUST_200600_302600_NS11hip_rocprim14__parallel_for6kernelILj256ENS1_11__transform17unary_transform_fINS0_12zip_iteratorINS0_5tupleINS0_6detail15normal_iteratorINS0_10device_ptrIiEEEESC_SC_SC_SC_SC_SC_SC_SC_NS0_17counting_iteratorIiNS0_11use_defaultESE_SE_EEEEEESC_NS4_14no_stencil_tagE10minFunctorNS4_21always_true_predicateEEElLj1EEEvT0_T1_SN_.uses_flat_scratch, 0
	.set _ZN6thrust23THRUST_200600_302600_NS11hip_rocprim14__parallel_for6kernelILj256ENS1_11__transform17unary_transform_fINS0_12zip_iteratorINS0_5tupleINS0_6detail15normal_iteratorINS0_10device_ptrIiEEEESC_SC_SC_SC_SC_SC_SC_SC_NS0_17counting_iteratorIiNS0_11use_defaultESE_SE_EEEEEESC_NS4_14no_stencil_tagE10minFunctorNS4_21always_true_predicateEEElLj1EEEvT0_T1_SN_.has_dyn_sized_stack, 0
	.set _ZN6thrust23THRUST_200600_302600_NS11hip_rocprim14__parallel_for6kernelILj256ENS1_11__transform17unary_transform_fINS0_12zip_iteratorINS0_5tupleINS0_6detail15normal_iteratorINS0_10device_ptrIiEEEESC_SC_SC_SC_SC_SC_SC_SC_NS0_17counting_iteratorIiNS0_11use_defaultESE_SE_EEEEEESC_NS4_14no_stencil_tagE10minFunctorNS4_21always_true_predicateEEElLj1EEEvT0_T1_SN_.has_recursion, 0
	.set _ZN6thrust23THRUST_200600_302600_NS11hip_rocprim14__parallel_for6kernelILj256ENS1_11__transform17unary_transform_fINS0_12zip_iteratorINS0_5tupleINS0_6detail15normal_iteratorINS0_10device_ptrIiEEEESC_SC_SC_SC_SC_SC_SC_SC_NS0_17counting_iteratorIiNS0_11use_defaultESE_SE_EEEEEESC_NS4_14no_stencil_tagE10minFunctorNS4_21always_true_predicateEEElLj1EEEvT0_T1_SN_.has_indirect_call, 0
	.section	.AMDGPU.csdata,"",@progbits
; Kernel info:
; codeLenInByte = 7416
; TotalNumSgprs: 39
; NumVgprs: 16
; ScratchSize: 0
; MemoryBound: 0
; FloatMode: 240
; IeeeMode: 1
; LDSByteSize: 0 bytes/workgroup (compile time only)
; SGPRBlocks: 0
; VGPRBlocks: 0
; NumSGPRsForWavesPerEU: 39
; NumVGPRsForWavesPerEU: 16
; NamedBarCnt: 0
; Occupancy: 16
; WaveLimiterHint : 1
; COMPUTE_PGM_RSRC2:SCRATCH_EN: 0
; COMPUTE_PGM_RSRC2:USER_SGPR: 2
; COMPUTE_PGM_RSRC2:TRAP_HANDLER: 0
; COMPUTE_PGM_RSRC2:TGID_X_EN: 1
; COMPUTE_PGM_RSRC2:TGID_Y_EN: 0
; COMPUTE_PGM_RSRC2:TGID_Z_EN: 0
; COMPUTE_PGM_RSRC2:TIDIG_COMP_CNT: 0
	.section	.AMDGPU.gpr_maximums,"",@progbits
	.set amdgpu.max_num_vgpr, 0
	.set amdgpu.max_num_agpr, 0
	.set amdgpu.max_num_sgpr, 0
	.section	.AMDGPU.csdata,"",@progbits
	.type	__hip_cuid_a1f6a47e42b8f2b8,@object ; @__hip_cuid_a1f6a47e42b8f2b8
	.section	.bss,"aw",@nobits
	.globl	__hip_cuid_a1f6a47e42b8f2b8
__hip_cuid_a1f6a47e42b8f2b8:
	.byte	0                               ; 0x0
	.size	__hip_cuid_a1f6a47e42b8f2b8, 1

	.ident	"AMD clang version 22.0.0git (https://github.com/RadeonOpenCompute/llvm-project roc-7.2.4 26084 f58b06dce1f9c15707c5f808fd002e18c2accf7e)"
	.section	".note.GNU-stack","",@progbits
	.addrsig
	.addrsig_sym __hip_cuid_a1f6a47e42b8f2b8
	.amdgpu_metadata
---
amdhsa.kernels:
  - .args:
      - .offset:         0
        .size:           104
        .value_kind:     by_value
      - .offset:         104
        .size:           8
        .value_kind:     by_value
      - .offset:         112
        .size:           8
        .value_kind:     by_value
    .group_segment_fixed_size: 0
    .kernarg_segment_align: 8
    .kernarg_segment_size: 120
    .language:       OpenCL C
    .language_version:
      - 2
      - 0
    .max_flat_workgroup_size: 256
    .name:           _ZN6thrust23THRUST_200600_302600_NS11hip_rocprim14__parallel_for6kernelILj256ENS1_11__transform17unary_transform_fINS0_12zip_iteratorINS0_5tupleINS0_6detail15normal_iteratorINS0_10device_ptrIiEEEESC_SC_SC_SC_SC_SC_SC_SC_NS0_17counting_iteratorIiNS0_11use_defaultESE_SE_EEEEEESC_NS4_14no_stencil_tagE10minFunctorNS4_21always_true_predicateEEElLj1EEEvT0_T1_SN_
    .private_segment_fixed_size: 0
    .sgpr_count:     39
    .sgpr_spill_count: 0
    .symbol:         _ZN6thrust23THRUST_200600_302600_NS11hip_rocprim14__parallel_for6kernelILj256ENS1_11__transform17unary_transform_fINS0_12zip_iteratorINS0_5tupleINS0_6detail15normal_iteratorINS0_10device_ptrIiEEEESC_SC_SC_SC_SC_SC_SC_SC_NS0_17counting_iteratorIiNS0_11use_defaultESE_SE_EEEEEESC_NS4_14no_stencil_tagE10minFunctorNS4_21always_true_predicateEEElLj1EEEvT0_T1_SN_.kd
    .uniform_work_group_size: 1
    .uses_dynamic_stack: false
    .vgpr_count:     16
    .vgpr_spill_count: 0
    .wavefront_size: 32
amdhsa.target:   amdgcn-amd-amdhsa--gfx1250
amdhsa.version:
  - 1
  - 2
...

	.end_amdgpu_metadata
